;; amdgpu-corpus repo=ROCm/rocFFT kind=compiled arch=gfx1201 opt=O3
	.text
	.amdgcn_target "amdgcn-amd-amdhsa--gfx1201"
	.amdhsa_code_object_version 6
	.protected	bluestein_single_fwd_len91_dim1_dp_op_CI_CI ; -- Begin function bluestein_single_fwd_len91_dim1_dp_op_CI_CI
	.globl	bluestein_single_fwd_len91_dim1_dp_op_CI_CI
	.p2align	8
	.type	bluestein_single_fwd_len91_dim1_dp_op_CI_CI,@function
bluestein_single_fwd_len91_dim1_dp_op_CI_CI: ; @bluestein_single_fwd_len91_dim1_dp_op_CI_CI
; %bb.0:
	s_load_b128 s[16:19], s[0:1], 0x28
	v_mul_u32_u24_e32 v1, 0x13b2, v0
	s_mov_b32 s2, exec_lo
	s_delay_alu instid0(VALU_DEP_1) | instskip(NEXT) | instid1(VALU_DEP_1)
	v_lshrrev_b32_e32 v1, 16, v1
	v_mad_co_u64_u32 v[128:129], null, ttmp9, 19, v[1:2]
	v_mov_b32_e32 v129, 0
	s_wait_kmcnt 0x0
	s_delay_alu instid0(VALU_DEP_1)
	v_cmpx_gt_u64_e64 s[16:17], v[128:129]
	s_cbranch_execz .LBB0_10
; %bb.1:
	s_clause 0x1
	s_load_b128 s[4:7], s[0:1], 0x18
	s_load_b128 s[8:11], s[0:1], 0x0
	v_mul_lo_u16 v1, v1, 13
	v_mul_hi_u32 v85, 0xaf286bcb, v128
	s_mov_b32 s17, 0x3fe77f67
	s_mov_b32 s16, 0x5476071b
	s_delay_alu instid0(VALU_DEP_2) | instskip(NEXT) | instid1(VALU_DEP_2)
	v_sub_nc_u16 v28, v0, v1
	v_sub_nc_u32_e32 v86, v128, v85
	s_delay_alu instid0(VALU_DEP_2) | instskip(NEXT) | instid1(VALU_DEP_2)
	v_and_b32_e32 v92, 0xffff, v28
	v_lshrrev_b32_e32 v86, 1, v86
	s_wait_kmcnt 0x0
	s_load_b128 s[12:15], s[4:5], 0x0
	s_delay_alu instid0(VALU_DEP_1) | instskip(NEXT) | instid1(VALU_DEP_1)
	v_add_nc_u32_e32 v85, v86, v85
	v_lshrrev_b32_e32 v85, 4, v85
	s_wait_kmcnt 0x0
	v_mad_co_u64_u32 v[0:1], null, s14, v128, 0
	v_mad_co_u64_u32 v[2:3], null, s12, v92, 0
	s_mul_u64 s[2:3], s[12:13], 0xd0
	s_delay_alu instid0(VALU_DEP_1) | instskip(SKIP_2) | instid1(VALU_DEP_1)
	v_mad_co_u64_u32 v[4:5], null, s15, v128, v[1:2]
	s_mov_b32 s14, 0xe976ee23
	s_mov_b32 s15, 0xbfe11646
	v_mov_b32_e32 v1, v4
	s_delay_alu instid0(VALU_DEP_3) | instskip(SKIP_2) | instid1(VALU_DEP_3)
	v_mad_co_u64_u32 v[5:6], null, s13, v92, v[3:4]
	v_lshlrev_b32_e32 v195, 4, v92
	s_mov_b32 s12, 0x36b3c0b5
	v_lshlrev_b64_e32 v[0:1], 4, v[0:1]
	s_mov_b32 s13, 0x3fac98ee
	s_delay_alu instid0(VALU_DEP_3) | instskip(NEXT) | instid1(VALU_DEP_2)
	v_mov_b32_e32 v3, v5
	v_add_co_u32 v0, vcc_lo, s18, v0
	s_delay_alu instid0(VALU_DEP_3) | instskip(NEXT) | instid1(VALU_DEP_3)
	v_add_co_ci_u32_e32 v1, vcc_lo, s19, v1, vcc_lo
	v_lshlrev_b64_e32 v[2:3], 4, v[2:3]
	s_mov_b32 s19, 0x3fd5d0dc
	s_mov_b32 s18, 0xb247c609
	s_delay_alu instid0(VALU_DEP_1) | instskip(SKIP_1) | instid1(VALU_DEP_2)
	v_add_co_u32 v16, vcc_lo, v0, v2
	s_wait_alu 0xfffd
	v_add_co_ci_u32_e32 v17, vcc_lo, v1, v3, vcc_lo
	s_clause 0x1
	global_load_b128 v[0:3], v195, s[8:9]
	global_load_b128 v[4:7], v195, s[8:9] offset:208
	v_add_co_u32 v18, vcc_lo, v16, s2
	s_wait_alu 0xfffd
	v_add_co_ci_u32_e32 v19, vcc_lo, s3, v17, vcc_lo
	s_clause 0x1
	global_load_b128 v[8:11], v195, s[8:9] offset:416
	global_load_b128 v[12:15], v195, s[8:9] offset:624
	v_add_co_u32 v20, vcc_lo, v18, s2
	s_wait_alu 0xfffd
	v_add_co_ci_u32_e32 v21, vcc_lo, s3, v19, vcc_lo
	global_load_b128 v[29:32], v[16:17], off
	v_add_co_u32 v22, vcc_lo, v20, s2
	s_wait_alu 0xfffd
	v_add_co_ci_u32_e32 v23, vcc_lo, s3, v21, vcc_lo
	s_clause 0x1
	global_load_b128 v[33:36], v[18:19], off
	global_load_b128 v[37:40], v[20:21], off
	v_add_co_u32 v16, vcc_lo, v22, s2
	s_wait_alu 0xfffd
	v_add_co_ci_u32_e32 v17, vcc_lo, s3, v23, vcc_lo
	s_clause 0x1
	global_load_b128 v[41:44], v[22:23], off
	global_load_b128 v[45:48], v[16:17], off
	v_add_co_u32 v24, vcc_lo, v16, s2
	s_wait_alu 0xfffd
	v_add_co_ci_u32_e32 v25, vcc_lo, s3, v17, vcc_lo
	s_delay_alu instid0(VALU_DEP_2) | instskip(SKIP_1) | instid1(VALU_DEP_2)
	v_add_co_u32 v53, vcc_lo, v24, s2
	s_wait_alu 0xfffd
	v_add_co_ci_u32_e32 v54, vcc_lo, s3, v25, vcc_lo
	s_clause 0x1
	global_load_b128 v[20:23], v195, s[8:9] offset:832
	global_load_b128 v[16:19], v195, s[8:9] offset:1040
	global_load_b128 v[49:52], v[24:25], off
	global_load_b128 v[24:27], v195, s[8:9] offset:1248
	global_load_b128 v[53:56], v[53:54], off
	s_load_b128 s[4:7], s[6:7], 0x0
	s_mov_b32 s2, 0x37e14327
	s_mov_b32 s3, 0x3fe948f6
	v_cmp_gt_u16_e32 vcc_lo, 7, v28
	s_wait_loadcnt 0x9
	v_mul_f64_e32 v[57:58], v[31:32], v[2:3]
	v_mul_f64_e32 v[59:60], v[29:30], v[2:3]
	s_wait_loadcnt 0x8
	v_mul_f64_e32 v[61:62], v[35:36], v[6:7]
	v_mul_f64_e32 v[63:64], v[33:34], v[6:7]
	;; [unrolled: 3-line block ×7, first 2 shown]
	v_fma_f64 v[29:30], v[29:30], v[0:1], v[57:58]
	v_fma_f64 v[31:32], v[31:32], v[0:1], -v[59:60]
	v_mul_lo_u32 v57, v85, 19
	v_fma_f64 v[33:34], v[33:34], v[4:5], v[61:62]
	v_fma_f64 v[35:36], v[35:36], v[4:5], -v[63:64]
	v_fma_f64 v[37:38], v[37:38], v[8:9], v[65:66]
	v_fma_f64 v[39:40], v[39:40], v[8:9], -v[67:68]
	v_sub_nc_u32_e32 v57, v128, v57
	v_fma_f64 v[41:42], v[41:42], v[12:13], v[69:70]
	v_fma_f64 v[43:44], v[43:44], v[12:13], -v[71:72]
	s_delay_alu instid0(VALU_DEP_3)
	v_mul_u32_u24_e32 v57, 0x5b, v57
	v_fma_f64 v[45:46], v[45:46], v[20:21], v[73:74]
	v_fma_f64 v[47:48], v[47:48], v[20:21], -v[75:76]
	v_fma_f64 v[49:50], v[49:50], v[16:17], v[77:78]
	v_fma_f64 v[51:52], v[51:52], v[16:17], -v[79:80]
	v_lshlrev_b32_e32 v80, 4, v57
	v_fma_f64 v[53:54], v[53:54], v[24:25], v[81:82]
	v_fma_f64 v[55:56], v[55:56], v[24:25], -v[83:84]
                                        ; implicit-def: $vgpr84_vgpr85
	s_delay_alu instid0(VALU_DEP_3)
	v_add_nc_u32_e32 v255, v195, v80
	ds_store_b128 v255, v[29:32]
	ds_store_b128 v255, v[33:36] offset:208
	ds_store_b128 v255, v[37:40] offset:416
	;; [unrolled: 1-line block ×6, first 2 shown]
	global_wb scope:SCOPE_SE
	s_wait_dscnt 0x0
	s_wait_kmcnt 0x0
	s_barrier_signal -1
	s_barrier_wait -1
	global_inv scope:SCOPE_SE
	ds_load_b128 v[29:32], v255 offset:208
	ds_load_b128 v[33:36], v255 offset:1248
	;; [unrolled: 1-line block ×6, first 2 shown]
	scratch_store_b32 off, v80, off offset:4 ; 4-byte Folded Spill
	s_wait_dscnt 0x4
	v_add_f64_e32 v[53:54], v[29:30], v[33:34]
	v_add_f64_e32 v[55:56], v[31:32], v[35:36]
	s_wait_dscnt 0x2
	v_add_f64_e32 v[57:58], v[41:42], v[37:38]
	v_add_f64_e32 v[59:60], v[43:44], v[39:40]
	s_wait_dscnt 0x0
	v_add_f64_e32 v[61:62], v[45:46], v[49:50]
	v_add_f64_e32 v[63:64], v[47:48], v[51:52]
	v_add_f64_e64 v[37:38], v[41:42], -v[37:38]
	v_add_f64_e64 v[39:40], v[43:44], -v[39:40]
	;; [unrolled: 1-line block ×6, first 2 shown]
	v_add_f64_e32 v[29:30], v[57:58], v[53:54]
	v_add_f64_e32 v[31:32], v[59:60], v[55:56]
	v_add_f64_e64 v[45:46], v[53:54], -v[61:62]
	v_add_f64_e64 v[47:48], v[55:56], -v[63:64]
	;; [unrolled: 1-line block ×10, first 2 shown]
	v_add_f64_e32 v[37:38], v[41:42], v[37:38]
	v_add_f64_e32 v[39:40], v[43:44], v[39:40]
	v_add_f64_e64 v[41:42], v[33:34], -v[41:42]
	v_add_f64_e64 v[43:44], v[35:36], -v[43:44]
	v_add_f64_e32 v[61:62], v[61:62], v[29:30]
	v_add_f64_e32 v[63:64], v[63:64], v[31:32]
	ds_load_b128 v[29:32], v255
	s_wait_alu 0xfffe
	v_mul_f64_e32 v[45:46], s[2:3], v[45:46]
	v_mul_f64_e32 v[47:48], s[2:3], v[47:48]
	s_mov_b32 s2, 0x429ad128
	v_mul_f64_e32 v[57:58], s[12:13], v[49:50]
	v_mul_f64_e32 v[59:60], s[12:13], v[51:52]
	;; [unrolled: 1-line block ×4, first 2 shown]
	s_mov_b32 s3, 0x3febfeb5
	s_mov_b32 s14, 0xaaaaaaaa
	s_wait_alu 0xfffe
	v_mul_f64_e32 v[73:74], s[2:3], v[69:70]
	v_mul_f64_e32 v[75:76], s[2:3], v[71:72]
	s_mov_b32 s15, 0xbff2aaaa
	global_wb scope:SCOPE_SE
	s_wait_storecnt_dscnt 0x0
	s_barrier_signal -1
	s_barrier_wait -1
	global_inv scope:SCOPE_SE
	v_add_f64_e32 v[100:101], v[29:30], v[61:62]
	v_add_f64_e32 v[102:103], v[31:32], v[63:64]
	v_add_f64_e32 v[29:30], v[37:38], v[33:34]
	v_add_f64_e32 v[31:32], v[39:40], v[35:36]
	v_fma_f64 v[33:34], v[49:50], s[12:13], v[45:46]
	v_fma_f64 v[35:36], v[51:52], s[12:13], v[47:48]
	v_fma_f64 v[37:38], v[53:54], s[16:17], -v[57:58]
	v_fma_f64 v[39:40], v[55:56], s[16:17], -v[59:60]
	s_mov_b32 s17, 0xbfe77f67
	v_fma_f64 v[49:50], v[41:42], s[18:19], v[65:66]
	v_fma_f64 v[51:52], v[43:44], s[18:19], v[67:68]
	s_mov_b32 s19, 0xbfd5d0dc
	v_fma_f64 v[57:58], v[69:70], s[2:3], -v[65:66]
	v_fma_f64 v[59:60], v[71:72], s[2:3], -v[67:68]
	s_wait_alu 0xfffe
	v_fma_f64 v[41:42], v[41:42], s[18:19], -v[73:74]
	v_fma_f64 v[43:44], v[43:44], s[18:19], -v[75:76]
	;; [unrolled: 1-line block ×4, first 2 shown]
	s_mov_b32 s2, 0x37c3f68c
	s_mov_b32 s3, 0x3fdc38aa
	v_fma_f64 v[61:62], v[61:62], s[14:15], v[100:101]
	v_fma_f64 v[63:64], v[63:64], s[14:15], v[102:103]
	s_wait_alu 0xfffe
	v_fma_f64 v[53:54], v[29:30], s[2:3], v[49:50]
	v_fma_f64 v[55:56], v[31:32], s[2:3], v[51:52]
	;; [unrolled: 1-line block ×6, first 2 shown]
	s_load_b64 s[2:3], s[0:1], 0x38
	v_add_co_u32 v104, s0, s8, v195
	s_wait_alu 0xf1ff
	v_add_co_ci_u32_e64 v105, null, s9, 0, s0
	v_add_f64_e32 v[68:69], v[33:34], v[61:62]
	v_add_f64_e32 v[70:71], v[35:36], v[63:64]
	;; [unrolled: 1-line block ×7, first 2 shown]
	v_add_f64_e64 v[34:35], v[70:71], -v[53:54]
	v_add_f64_e32 v[44:45], v[65:66], v[41:42]
	v_add_f64_e64 v[46:47], v[72:73], -v[29:30]
	v_add_f64_e64 v[48:49], v[36:37], -v[59:60]
	v_add_f64_e32 v[50:51], v[57:58], v[38:39]
	v_add_f64_e32 v[60:61], v[36:37], v[59:60]
	v_add_f64_e64 v[62:63], v[38:39], -v[57:58]
	v_add_f64_e64 v[64:65], v[65:66], -v[41:42]
	v_add_f64_e32 v[66:67], v[29:30], v[72:73]
	v_add_f64_e64 v[76:77], v[68:69], -v[55:56]
	v_add_f64_e32 v[78:79], v[53:54], v[70:71]
	v_mul_lo_u16 v29, v28, 7
                                        ; implicit-def: $vgpr68_vgpr69
                                        ; implicit-def: $vgpr72_vgpr73
                                        ; implicit-def: $vgpr52_vgpr53
                                        ; implicit-def: $vgpr56_vgpr57
	s_delay_alu instid0(VALU_DEP_1) | instskip(NEXT) | instid1(VALU_DEP_1)
	v_and_b32_e32 v28, 0xffff, v29
	v_lshl_add_u32 v196, v28, 4, v80
	ds_store_b128 v196, v[100:103]
	ds_store_b128 v196, v[32:35] offset:16
	ds_store_b128 v196, v[44:47] offset:32
	;; [unrolled: 1-line block ×6, first 2 shown]
	global_wb scope:SCOPE_SE
	s_wait_dscnt 0x0
	s_wait_kmcnt 0x0
	s_barrier_signal -1
	s_barrier_wait -1
	global_inv scope:SCOPE_SE
                                        ; implicit-def: $vgpr80_vgpr81
	s_and_saveexec_b32 s0, vcc_lo
	s_cbranch_execz .LBB0_3
; %bb.2:
	ds_load_b128 v[100:103], v255
	ds_load_b128 v[32:35], v255 offset:112
	ds_load_b128 v[44:47], v255 offset:224
	;; [unrolled: 1-line block ×12, first 2 shown]
.LBB0_3:
	s_wait_alu 0xfffe
	s_or_b32 exec_lo, exec_lo, s0
	v_add_nc_u32_e32 v28, -7, v92
	s_mov_b32 s22, 0x42a4c3d2
	s_mov_b32 s21, 0xbfddbe06
	;; [unrolled: 1-line block ×4, first 2 shown]
	v_cndmask_b32_e32 v28, v28, v92, vcc_lo
	s_mov_b32 s26, 0x66966769
	s_mov_b32 s27, 0xbfefc445
	;; [unrolled: 1-line block ×4, first 2 shown]
	v_mul_hi_i32_i24_e32 v29, 12, v28
	v_mul_i32_i24_e32 v28, 12, v28
	s_mov_b32 s24, 0x2ef20147
	s_mov_b32 s25, 0xbfedeba7
	;; [unrolled: 1-line block ×4, first 2 shown]
	v_lshlrev_b64_e32 v[28:29], 4, v[28:29]
	s_mov_b32 s28, 0x24c2f84
	s_mov_b32 s29, 0xbfe5384d
	;; [unrolled: 1-line block ×5, first 2 shown]
	v_add_co_u32 v88, s0, s10, v28
	s_wait_alu 0xf1ff
	v_add_co_ci_u32_e64 v89, s0, s11, v29, s0
	s_mov_b32 s10, 0xe00740e9
	s_mov_b32 s11, 0x3fec55a7
	s_clause 0x1
	global_load_b128 v[28:31], v[88:89], off
	global_load_b128 v[36:39], v[88:89], off offset:16
	s_mov_b32 s0, 0x1ea71119
	s_mov_b32 s1, 0x3fe22d96
	;; [unrolled: 1-line block ×11, first 2 shown]
	s_wait_loadcnt_dscnt 0x10b
	v_mul_f64_e32 v[40:41], v[34:35], v[30:31]
	s_delay_alu instid0(VALU_DEP_1) | instskip(SKIP_1) | instid1(VALU_DEP_1)
	v_fma_f64 v[122:123], v[32:33], v[28:29], -v[40:41]
	v_mul_f64_e32 v[32:33], v[32:33], v[30:31]
	v_fma_f64 v[124:125], v[34:35], v[28:29], v[32:33]
	s_clause 0x1
	global_load_b128 v[32:35], v[88:89], off offset:176
	global_load_b128 v[40:43], v[88:89], off offset:160
	s_wait_loadcnt_dscnt 0x100
	v_mul_f64_e32 v[90:91], v[56:57], v[34:35]
	s_delay_alu instid0(VALU_DEP_1) | instskip(SKIP_1) | instid1(VALU_DEP_2)
	v_fma_f64 v[93:94], v[58:59], v[32:33], v[90:91]
	v_mul_f64_e32 v[58:59], v[58:59], v[34:35]
	v_add_f64_e64 v[96:97], v[124:125], -v[93:94]
	s_delay_alu instid0(VALU_DEP_2) | instskip(SKIP_2) | instid1(VALU_DEP_4)
	v_fma_f64 v[106:107], v[56:57], v[32:33], -v[58:59]
	v_mul_f64_e32 v[56:57], v[46:47], v[38:39]
	v_add_f64_e32 v[175:176], v[124:125], v[93:94]
	v_mul_f64_e32 v[219:220], s[20:21], v[96:97]
	s_delay_alu instid0(VALU_DEP_4) | instskip(NEXT) | instid1(VALU_DEP_4)
	v_add_f64_e32 v[231:232], v[122:123], v[106:107]
	v_fma_f64 v[112:113], v[44:45], v[36:37], -v[56:57]
	v_mul_f64_e32 v[44:45], v[44:45], v[38:39]
	v_mul_f64_e32 v[179:180], s[22:23], v[96:97]
	;; [unrolled: 1-line block ×4, first 2 shown]
	s_delay_alu instid0(VALU_DEP_4) | instskip(SKIP_2) | instid1(VALU_DEP_1)
	v_fma_f64 v[114:115], v[46:47], v[36:37], v[44:45]
	s_wait_loadcnt 0x0
	v_mul_f64_e32 v[44:45], v[52:53], v[42:43]
	v_fma_f64 v[108:109], v[54:55], v[40:41], v[44:45]
	v_mul_f64_e32 v[44:45], v[54:55], v[42:43]
	s_delay_alu instid0(VALU_DEP_2) | instskip(NEXT) | instid1(VALU_DEP_2)
	v_add_f64_e64 v[98:99], v[114:115], -v[108:109]
	v_fma_f64 v[110:111], v[52:53], v[40:41], -v[44:45]
	s_clause 0x1
	global_load_b128 v[44:47], v[88:89], off offset:32
	global_load_b128 v[52:55], v[88:89], off offset:48
	v_add_f64_e32 v[161:162], v[114:115], v[108:109]
	v_mul_f64_e32 v[221:222], s[36:37], v[98:99]
	v_add_f64_e32 v[157:158], v[112:113], v[110:111]
	v_mul_f64_e32 v[253:254], s[34:35], v[98:99]
	s_wait_loadcnt 0x1
	v_mul_f64_e32 v[56:57], v[50:51], v[46:47]
	s_delay_alu instid0(VALU_DEP_1) | instskip(SKIP_1) | instid1(VALU_DEP_1)
	v_fma_f64 v[116:117], v[48:49], v[44:45], -v[56:57]
	v_mul_f64_e32 v[48:49], v[48:49], v[46:47]
	v_fma_f64 v[118:119], v[50:51], v[44:45], v[48:49]
	s_clause 0x1
	global_load_b128 v[48:51], v[88:89], off offset:144
	global_load_b128 v[56:59], v[88:89], off offset:128
	s_wait_loadcnt 0x1
	v_mul_f64_e32 v[90:91], v[74:75], v[50:51]
	s_delay_alu instid0(VALU_DEP_1) | instskip(SKIP_1) | instid1(VALU_DEP_2)
	v_fma_f64 v[90:91], v[72:73], v[48:49], -v[90:91]
	v_mul_f64_e32 v[72:73], v[72:73], v[50:51]
	v_add_f64_e32 v[165:166], v[116:117], v[90:91]
	s_delay_alu instid0(VALU_DEP_2) | instskip(SKIP_2) | instid1(VALU_DEP_3)
	v_fma_f64 v[120:121], v[74:75], v[48:49], v[72:73]
	v_mul_f64_e32 v[72:73], v[62:63], v[54:55]
	v_add_f64_e64 v[133:134], v[116:117], -v[90:91]
	v_add_f64_e64 v[126:127], v[118:119], -v[120:121]
	s_delay_alu instid0(VALU_DEP_3)
	v_fma_f64 v[135:136], v[60:61], v[52:53], -v[72:73]
	v_mul_f64_e32 v[60:61], v[60:61], v[54:55]
	v_add_f64_e32 v[169:170], v[118:119], v[120:121]
	v_mul_f64_e32 v[233:234], s[38:39], v[133:134]
	v_mul_f64_e32 v[163:164], s[22:23], v[133:134]
	;; [unrolled: 1-line block ×3, first 2 shown]
	v_fma_f64 v[137:138], v[62:63], v[52:53], v[60:61]
	s_wait_loadcnt 0x0
	v_mul_f64_e32 v[60:61], v[70:71], v[58:59]
	s_delay_alu instid0(VALU_DEP_1) | instskip(SKIP_1) | instid1(VALU_DEP_2)
	v_fma_f64 v[129:130], v[68:69], v[56:57], -v[60:61]
	v_mul_f64_e32 v[60:61], v[68:69], v[58:59]
	v_add_f64_e32 v[173:174], v[135:136], v[129:130]
	s_delay_alu instid0(VALU_DEP_2)
	v_fma_f64 v[131:132], v[70:71], v[56:57], v[60:61]
	s_clause 0x1
	global_load_b128 v[60:63], v[88:89], off offset:64
	global_load_b128 v[68:71], v[88:89], off offset:80
	v_add_f64_e64 v[197:198], v[135:136], -v[129:130]
	v_add_f64_e64 v[187:188], v[137:138], -v[131:132]
	v_add_f64_e32 v[181:182], v[137:138], v[131:132]
	s_delay_alu instid0(VALU_DEP_3) | instskip(SKIP_1) | instid1(VALU_DEP_4)
	v_mul_f64_e32 v[211:212], s[36:37], v[197:198]
	v_mul_f64_e32 v[155:156], s[26:27], v[197:198]
	;; [unrolled: 1-line block ×3, first 2 shown]
	s_wait_loadcnt 0x1
	v_mul_f64_e32 v[72:73], v[66:67], v[62:63]
	s_delay_alu instid0(VALU_DEP_1) | instskip(SKIP_1) | instid1(VALU_DEP_1)
	v_fma_f64 v[139:140], v[64:65], v[60:61], -v[72:73]
	v_mul_f64_e32 v[64:65], v[64:65], v[62:63]
	v_fma_f64 v[141:142], v[66:67], v[60:61], v[64:65]
	s_clause 0x1
	global_load_b128 v[64:67], v[88:89], off offset:112
	global_load_b128 v[72:75], v[88:89], off offset:96
	s_wait_loadcnt 0x1
	v_mul_f64_e32 v[88:89], v[86:87], v[66:67]
	s_delay_alu instid0(VALU_DEP_1) | instskip(SKIP_1) | instid1(VALU_DEP_2)
	v_fma_f64 v[88:89], v[84:85], v[64:65], -v[88:89]
	v_mul_f64_e32 v[84:85], v[84:85], v[66:67]
	v_add_f64_e32 v[177:178], v[139:140], v[88:89]
	s_delay_alu instid0(VALU_DEP_2) | instskip(SKIP_2) | instid1(VALU_DEP_3)
	v_fma_f64 v[86:87], v[86:87], v[64:65], v[84:85]
	v_mul_f64_e32 v[84:85], v[78:79], v[70:71]
	v_add_f64_e64 v[201:202], v[139:140], -v[88:89]
	v_add_f64_e64 v[199:200], v[141:142], -v[86:87]
	s_delay_alu instid0(VALU_DEP_3)
	v_fma_f64 v[84:85], v[76:77], v[68:69], -v[84:85]
	v_mul_f64_e32 v[76:77], v[76:77], v[70:71]
	v_add_f64_e32 v[189:190], v[141:142], v[86:87]
	v_mul_f64_e32 v[225:226], s[34:35], v[201:202]
	v_mul_f64_e32 v[243:244], s[22:23], v[201:202]
	;; [unrolled: 1-line block ×4, first 2 shown]
	v_fma_f64 v[145:146], v[78:79], v[68:69], v[76:77]
	s_wait_loadcnt 0x0
	v_mul_f64_e32 v[76:77], v[82:83], v[74:75]
	v_mul_f64_e32 v[78:79], s[22:23], v[98:99]
	s_delay_alu instid0(VALU_DEP_2)
	v_fma_f64 v[143:144], v[80:81], v[72:73], -v[76:77]
	v_mul_f64_e32 v[76:77], v[80:81], v[74:75]
	s_clause 0x2
	scratch_store_b64 off, v[78:79], off offset:200
	scratch_store_b64 off, v[106:107], off offset:16
	;; [unrolled: 1-line block ×3, first 2 shown]
	v_add_f64_e64 v[122:123], v[122:123], -v[106:107]
	s_wait_alu 0xf1fe
	v_fma_f64 v[78:79], v[157:158], s[0:1], v[78:79]
	s_clause 0x1
	scratch_store_b64 off, v[93:94], off offset:8
	scratch_store_b64 off, v[124:125], off offset:192
	v_add_f64_e64 v[124:125], v[112:113], -v[110:111]
	s_clause 0x3
	scratch_store_b64 off, v[110:111], off offset:32
	scratch_store_b64 off, v[112:113], off offset:40
	;; [unrolled: 1-line block ×4, first 2 shown]
	v_fma_f64 v[94:95], v[157:158], s[12:13], v[253:254]
	v_add_f64_e32 v[185:186], v[84:85], v[143:144]
	v_fma_f64 v[82:83], v[82:83], v[72:73], v[76:77]
	v_fma_f64 v[76:77], v[231:232], s[10:11], v[219:220]
	v_add_f64_e64 v[205:206], v[84:85], -v[143:144]
	v_mul_f64_e32 v[171:172], s[20:21], v[122:123]
	v_mul_f64_e32 v[183:184], s[22:23], v[122:123]
	s_mov_b32 s21, 0x3fddbe06
	v_mul_f64_e32 v[80:81], s[22:23], v[124:125]
	v_mul_f64_e32 v[217:218], s[30:31], v[124:125]
	s_wait_alu 0xfffe
	v_mul_f64_e32 v[223:224], s[20:21], v[187:188]
	v_mul_f64_e32 v[237:238], s[20:21], v[197:198]
	;; [unrolled: 1-line block ×9, first 2 shown]
	v_add_f64_e64 v[203:204], v[145:146], -v[82:83]
	v_add_f64_e32 v[76:77], v[100:101], v[76:77]
	v_add_f64_e32 v[193:194], v[145:146], v[82:83]
	v_mul_f64_e32 v[229:230], s[20:21], v[205:206]
	v_mul_f64_e32 v[239:240], s[28:29], v[205:206]
	scratch_store_b64 off, v[80:81], off offset:208 ; 8-byte Folded Spill
	v_fma_f64 v[80:81], v[161:162], s[0:1], -v[80:81]
	v_fma_f64 v[106:107], v[161:162], s[12:13], -v[159:160]
	v_mul_f64_e32 v[207:208], s[20:21], v[203:204]
	v_add_f64_e32 v[76:77], v[78:79], v[76:77]
	v_fma_f64 v[78:79], v[175:176], s[10:11], -v[171:172]
	v_mul_f64_e32 v[215:216], s[28:29], v[203:204]
	s_delay_alu instid0(VALU_DEP_2) | instskip(NEXT) | instid1(VALU_DEP_1)
	v_add_f64_e32 v[78:79], v[102:103], v[78:79]
	v_add_f64_e32 v[78:79], v[80:81], v[78:79]
	v_mul_f64_e32 v[80:81], s[26:27], v[126:127]
	scratch_store_b64 off, v[80:81], off offset:216 ; 8-byte Folded Spill
	v_fma_f64 v[80:81], v[165:166], s[12:13], v[80:81]
	s_clause 0x3
	scratch_store_b64 off, v[116:117], off offset:56
	scratch_store_b64 off, v[90:91], off offset:72
	;; [unrolled: 1-line block ×4, first 2 shown]
	v_fma_f64 v[90:91], v[157:158], s[16:17], v[221:222]
	v_mul_f64_e32 v[116:117], s[20:21], v[199:200]
	v_add_f64_e32 v[76:77], v[80:81], v[76:77]
	v_mul_f64_e32 v[80:81], s[26:27], v[133:134]
	scratch_store_b64 off, v[80:81], off offset:224 ; 8-byte Folded Spill
	v_fma_f64 v[80:81], v[169:170], s[12:13], -v[80:81]
	s_delay_alu instid0(VALU_DEP_1)
	v_add_f64_e32 v[78:79], v[80:81], v[78:79]
	v_mul_f64_e32 v[80:81], s[24:25], v[187:188]
	scratch_store_b64 off, v[80:81], off offset:232 ; 8-byte Folded Spill
	v_fma_f64 v[80:81], v[173:174], s[14:15], v[80:81]
	s_clause 0x3
	scratch_store_b64 off, v[129:130], off offset:88
	scratch_store_b64 off, v[135:136], off offset:104
	;; [unrolled: 1-line block ×4, first 2 shown]
	v_mul_f64_e32 v[129:130], s[26:27], v[96:97]
	v_mul_f64_e32 v[131:132], s[26:27], v[122:123]
	;; [unrolled: 1-line block ×4, first 2 shown]
	s_mov_b32 s27, 0x3fcea1e5
	s_mov_b32 s26, s30
	v_fma_f64 v[96:97], v[231:232], s[18:19], v[151:152]
	s_wait_alu 0xfffe
	v_mul_f64_e32 v[247:248], s[26:27], v[199:200]
	v_mul_f64_e32 v[108:109], s[26:27], v[201:202]
	;; [unrolled: 1-line block ×4, first 2 shown]
	v_add_f64_e32 v[76:77], v[80:81], v[76:77]
	v_mul_f64_e32 v[80:81], s[24:25], v[197:198]
	v_add_f64_e32 v[96:97], v[100:101], v[96:97]
	scratch_store_b64 off, v[80:81], off offset:248 ; 8-byte Folded Spill
	v_fma_f64 v[80:81], v[181:182], s[14:15], -v[80:81]
	s_delay_alu instid0(VALU_DEP_1)
	v_add_f64_e32 v[78:79], v[80:81], v[78:79]
	v_mul_f64_e32 v[80:81], s[28:29], v[199:200]
	scratch_store_b64 off, v[80:81], off offset:240 ; 8-byte Folded Spill
	v_fma_f64 v[80:81], v[177:178], s[16:17], v[80:81]
	s_clause 0x4
	scratch_store_b32 off, v92, off
	scratch_store_b64 off, v[139:140], off offset:120
	scratch_store_b64 off, v[88:89], off offset:136
	;; [unrolled: 1-line block ×4, first 2 shown]
	v_mul_f64_e32 v[86:87], s[30:31], v[98:99]
	v_fma_f64 v[88:89], v[161:162], s[18:19], -v[217:218]
	v_fma_f64 v[92:93], v[161:162], s[16:17], -v[245:246]
	v_mul_f64_e32 v[141:142], s[20:21], v[98:99]
	v_add_f64_e32 v[76:77], v[80:81], v[76:77]
	v_mul_f64_e32 v[80:81], s[28:29], v[201:202]
	scratch_store_b64 off, v[80:81], off offset:264 ; 8-byte Folded Spill
	v_fma_f64 v[80:81], v[189:190], s[16:17], -v[80:81]
	s_delay_alu instid0(VALU_DEP_1)
	v_add_f64_e32 v[78:79], v[80:81], v[78:79]
	v_mul_f64_e32 v[80:81], s[30:31], v[203:204]
	scratch_store_b64 off, v[80:81], off offset:256 ; 8-byte Folded Spill
	v_fma_f64 v[80:81], v[185:186], s[18:19], v[80:81]
	s_clause 0x3
	scratch_store_b64 off, v[84:85], off offset:152
	scratch_store_b64 off, v[143:144], off offset:160
	;; [unrolled: 1-line block ×4, first 2 shown]
	v_mul_f64_e32 v[82:83], s[24:25], v[98:99]
	v_mul_f64_e32 v[84:85], s[24:25], v[124:125]
	v_fma_f64 v[98:99], v[157:158], s[10:11], v[141:142]
	v_mul_f64_e32 v[145:146], s[20:21], v[124:125]
	v_mul_f64_e32 v[143:144], s[28:29], v[133:134]
	;; [unrolled: 1-line block ×3, first 2 shown]
	scratch_store_b64 off, v[86:87], off offset:304 ; 8-byte Folded Spill
	v_fma_f64 v[86:87], v[157:158], s[18:19], v[86:87]
	v_add_f64_e32 v[76:77], v[80:81], v[76:77]
	v_mul_f64_e32 v[80:81], s[30:31], v[205:206]
	s_clause 0x1
	scratch_store_b64 off, v[82:83], off offset:280
	scratch_store_b64 off, v[84:85], off offset:296
	v_fma_f64 v[82:83], v[157:158], s[14:15], v[82:83]
	v_fma_f64 v[84:85], v[161:162], s[14:15], -v[84:85]
	v_add_f64_e32 v[96:97], v[98:99], v[96:97]
	v_fma_f64 v[98:99], v[175:176], s[18:19], -v[153:154]
	v_fma_f64 v[122:123], v[161:162], s[10:11], -v[145:146]
	scratch_store_b64 off, v[80:81], off offset:272 ; 8-byte Folded Spill
	v_fma_f64 v[80:81], v[193:194], s[18:19], -v[80:81]
	v_add_f64_e32 v[98:99], v[102:103], v[98:99]
	s_delay_alu instid0(VALU_DEP_2) | instskip(SKIP_1) | instid1(VALU_DEP_3)
	v_add_f64_e32 v[78:79], v[80:81], v[78:79]
	v_fma_f64 v[80:81], v[231:232], s[0:1], v[179:180]
	v_add_f64_e32 v[98:99], v[122:123], v[98:99]
	s_delay_alu instid0(VALU_DEP_2) | instskip(NEXT) | instid1(VALU_DEP_1)
	v_add_f64_e32 v[80:81], v[100:101], v[80:81]
	v_add_f64_e32 v[80:81], v[82:83], v[80:81]
	v_fma_f64 v[82:83], v[175:176], s[0:1], -v[183:184]
	s_delay_alu instid0(VALU_DEP_1) | instskip(NEXT) | instid1(VALU_DEP_1)
	v_add_f64_e32 v[82:83], v[102:103], v[82:83]
	v_add_f64_e32 v[82:83], v[84:85], v[82:83]
	v_mul_f64_e32 v[84:85], s[30:31], v[126:127]
	scratch_store_b64 off, v[84:85], off offset:288 ; 8-byte Folded Spill
	v_fma_f64 v[84:85], v[165:166], s[18:19], v[84:85]
	s_delay_alu instid0(VALU_DEP_1) | instskip(SKIP_3) | instid1(VALU_DEP_1)
	v_add_f64_e32 v[80:81], v[84:85], v[80:81]
	v_mul_f64_e32 v[84:85], s[30:31], v[133:134]
	scratch_store_b64 off, v[84:85], off offset:320 ; 8-byte Folded Spill
	v_fma_f64 v[84:85], v[169:170], s[18:19], -v[84:85]
	v_add_f64_e32 v[82:83], v[84:85], v[82:83]
	v_mul_f64_e32 v[84:85], s[36:37], v[187:188]
	s_mov_b32 s37, 0x3fea55e2
	s_mov_b32 s36, s22
	s_wait_alu 0xfffe
	v_mul_f64_e32 v[249:250], s[36:37], v[203:204]
	v_mul_f64_e32 v[112:113], s[36:37], v[205:206]
	;; [unrolled: 1-line block ×5, first 2 shown]
	scratch_store_b64 off, v[84:85], off offset:312 ; 8-byte Folded Spill
	v_fma_f64 v[84:85], v[173:174], s[16:17], v[84:85]
	s_delay_alu instid0(VALU_DEP_1) | instskip(SKIP_1) | instid1(VALU_DEP_1)
	v_add_f64_e32 v[80:81], v[84:85], v[80:81]
	v_fma_f64 v[84:85], v[181:182], s[16:17], -v[211:212]
	v_add_f64_e32 v[82:83], v[84:85], v[82:83]
	v_fma_f64 v[84:85], v[177:178], s[12:13], v[209:210]
	s_delay_alu instid0(VALU_DEP_1) | instskip(SKIP_1) | instid1(VALU_DEP_1)
	v_add_f64_e32 v[80:81], v[84:85], v[80:81]
	v_fma_f64 v[84:85], v[189:190], s[12:13], -v[225:226]
	v_add_f64_e32 v[82:83], v[84:85], v[82:83]
	;; [unrolled: 5-line block ×3, first 2 shown]
	v_fma_f64 v[84:85], v[231:232], s[12:13], v[129:130]
	s_delay_alu instid0(VALU_DEP_1) | instskip(NEXT) | instid1(VALU_DEP_1)
	v_add_f64_e32 v[84:85], v[100:101], v[84:85]
	v_add_f64_e32 v[84:85], v[86:87], v[84:85]
	v_fma_f64 v[86:87], v[175:176], s[12:13], -v[131:132]
	s_delay_alu instid0(VALU_DEP_1) | instskip(NEXT) | instid1(VALU_DEP_1)
	v_add_f64_e32 v[86:87], v[102:103], v[86:87]
	v_add_f64_e32 v[86:87], v[88:89], v[86:87]
	v_fma_f64 v[88:89], v[165:166], s[14:15], v[213:214]
	s_delay_alu instid0(VALU_DEP_1) | instskip(SKIP_1) | instid1(VALU_DEP_1)
	v_add_f64_e32 v[84:85], v[88:89], v[84:85]
	v_fma_f64 v[88:89], v[169:170], s[14:15], -v[233:234]
	v_add_f64_e32 v[86:87], v[88:89], v[86:87]
	v_fma_f64 v[88:89], v[173:174], s[10:11], v[223:224]
	s_delay_alu instid0(VALU_DEP_1) | instskip(SKIP_1) | instid1(VALU_DEP_1)
	v_add_f64_e32 v[84:85], v[88:89], v[84:85]
	v_fma_f64 v[88:89], v[181:182], s[10:11], -v[237:238]
	v_add_f64_e32 v[86:87], v[88:89], v[86:87]
	v_fma_f64 v[88:89], v[177:178], s[0:1], v[227:228]
	s_delay_alu instid0(VALU_DEP_1) | instskip(SKIP_1) | instid1(VALU_DEP_1)
	v_add_f64_e32 v[84:85], v[88:89], v[84:85]
	v_fma_f64 v[88:89], v[189:190], s[0:1], -v[243:244]
	v_add_f64_e32 v[86:87], v[88:89], v[86:87]
	v_fma_f64 v[88:89], v[185:186], s[16:17], v[215:216]
	s_delay_alu instid0(VALU_DEP_1) | instskip(SKIP_1) | instid1(VALU_DEP_1)
	v_add_f64_e32 v[84:85], v[88:89], v[84:85]
	v_fma_f64 v[88:89], v[193:194], s[16:17], -v[239:240]
	v_add_f64_e32 v[86:87], v[88:89], v[86:87]
	v_fma_f64 v[88:89], v[231:232], s[14:15], v[135:136]
	s_delay_alu instid0(VALU_DEP_1) | instskip(NEXT) | instid1(VALU_DEP_1)
	v_add_f64_e32 v[88:89], v[100:101], v[88:89]
	v_add_f64_e32 v[88:89], v[90:91], v[88:89]
	v_fma_f64 v[90:91], v[175:176], s[14:15], -v[137:138]
	s_delay_alu instid0(VALU_DEP_1) | instskip(NEXT) | instid1(VALU_DEP_1)
	v_add_f64_e32 v[90:91], v[102:103], v[90:91]
	v_add_f64_e32 v[90:91], v[92:93], v[90:91]
	v_fma_f64 v[92:93], v[165:166], s[10:11], v[235:236]
	s_delay_alu instid0(VALU_DEP_1) | instskip(SKIP_1) | instid1(VALU_DEP_1)
	v_add_f64_e32 v[88:89], v[92:93], v[88:89]
	v_fma_f64 v[92:93], v[169:170], s[10:11], -v[251:252]
	v_add_f64_e32 v[90:91], v[92:93], v[90:91]
	v_fma_f64 v[92:93], v[173:174], s[12:13], v[241:242]
	s_delay_alu instid0(VALU_DEP_1) | instskip(SKIP_1) | instid1(VALU_DEP_1)
	v_add_f64_e32 v[88:89], v[92:93], v[88:89]
	v_fma_f64 v[92:93], v[181:182], s[12:13], -v[155:156]
	;; [unrolled: 5-line block ×4, first 2 shown]
	v_add_f64_e32 v[90:91], v[92:93], v[90:91]
	v_fma_f64 v[92:93], v[231:232], s[16:17], v[147:148]
	s_delay_alu instid0(VALU_DEP_1) | instskip(NEXT) | instid1(VALU_DEP_1)
	v_add_f64_e32 v[92:93], v[100:101], v[92:93]
	v_add_f64_e32 v[92:93], v[94:95], v[92:93]
	v_fma_f64 v[94:95], v[175:176], s[16:17], -v[149:150]
	s_delay_alu instid0(VALU_DEP_1) | instskip(NEXT) | instid1(VALU_DEP_1)
	v_add_f64_e32 v[94:95], v[102:103], v[94:95]
	v_add_f64_e32 v[94:95], v[106:107], v[94:95]
	v_mul_f64_e32 v[106:107], s[22:23], v[126:127]
	s_delay_alu instid0(VALU_DEP_1) | instskip(NEXT) | instid1(VALU_DEP_1)
	v_fma_f64 v[110:111], v[165:166], s[0:1], v[106:107]
	v_add_f64_e32 v[92:93], v[110:111], v[92:93]
	v_fma_f64 v[110:111], v[169:170], s[0:1], -v[163:164]
	s_delay_alu instid0(VALU_DEP_1) | instskip(SKIP_1) | instid1(VALU_DEP_1)
	v_add_f64_e32 v[94:95], v[110:111], v[94:95]
	v_fma_f64 v[110:111], v[173:174], s[18:19], v[114:115]
	v_add_f64_e32 v[92:93], v[110:111], v[92:93]
	v_fma_f64 v[110:111], v[181:182], s[18:19], -v[118:119]
	s_delay_alu instid0(VALU_DEP_1) | instskip(SKIP_1) | instid1(VALU_DEP_1)
	v_add_f64_e32 v[94:95], v[110:111], v[94:95]
	;; [unrolled: 5-line block ×3, first 2 shown]
	v_mul_f64_e32 v[110:111], s[24:25], v[203:204]
	v_fma_f64 v[120:121], v[185:186], s[14:15], v[110:111]
	s_delay_alu instid0(VALU_DEP_1) | instskip(SKIP_1) | instid1(VALU_DEP_1)
	v_add_f64_e32 v[92:93], v[120:121], v[92:93]
	v_mul_f64_e32 v[120:121], s[24:25], v[205:206]
	v_fma_f64 v[139:140], v[193:194], s[14:15], -v[120:121]
	s_delay_alu instid0(VALU_DEP_1) | instskip(SKIP_4) | instid1(VALU_DEP_1)
	v_add_f64_e32 v[94:95], v[139:140], v[94:95]
	v_mul_f64_e32 v[139:140], s[28:29], v[126:127]
	v_mul_f64_e32 v[126:127], s[24:25], v[201:202]
	scratch_load_b32 v201, off, off         ; 4-byte Folded Reload
	v_fma_f64 v[122:123], v[165:166], s[16:17], v[139:140]
	v_add_f64_e32 v[96:97], v[122:123], v[96:97]
	v_fma_f64 v[122:123], v[169:170], s[16:17], -v[143:144]
	s_delay_alu instid0(VALU_DEP_1) | instskip(SKIP_1) | instid1(VALU_DEP_1)
	v_add_f64_e32 v[98:99], v[122:123], v[98:99]
	v_fma_f64 v[122:123], v[173:174], s[0:1], v[191:192]
	v_add_f64_e32 v[96:97], v[122:123], v[96:97]
	v_fma_f64 v[122:123], v[181:182], s[0:1], -v[133:134]
	s_delay_alu instid0(VALU_DEP_1) | instskip(SKIP_1) | instid1(VALU_DEP_1)
	v_add_f64_e32 v[98:99], v[122:123], v[98:99]
	;; [unrolled: 5-line block ×3, first 2 shown]
	v_mul_f64_e32 v[122:123], s[34:35], v[203:204]
	v_fma_f64 v[197:198], v[185:186], s[12:13], v[122:123]
	s_delay_alu instid0(VALU_DEP_1) | instskip(SKIP_1) | instid1(VALU_DEP_1)
	v_add_f64_e32 v[96:97], v[197:198], v[96:97]
	v_fma_f64 v[197:198], v[193:194], s[12:13], -v[124:125]
	v_add_f64_e32 v[98:99], v[197:198], v[98:99]
	s_and_saveexec_b32 s20, vcc_lo
	s_cbranch_execz .LBB0_5
; %bb.4:
	v_mul_f64_e32 v[197:198], s[18:19], v[175:176]
	scratch_load_b64 v[199:200], off, off offset:184 th:TH_LOAD_LU ; 8-byte Folded Reload
	v_add_f64_e32 v[153:154], v[153:154], v[197:198]
	v_mul_f64_e32 v[197:198], s[18:19], v[231:232]
	s_delay_alu instid0(VALU_DEP_2) | instskip(NEXT) | instid1(VALU_DEP_2)
	v_add_f64_e32 v[153:154], v[102:103], v[153:154]
	v_add_f64_e64 v[151:152], v[197:198], -v[151:152]
	v_mul_f64_e32 v[197:198], s[16:17], v[175:176]
	s_delay_alu instid0(VALU_DEP_2) | instskip(NEXT) | instid1(VALU_DEP_2)
	v_add_f64_e32 v[151:152], v[100:101], v[151:152]
	v_add_f64_e32 v[149:150], v[149:150], v[197:198]
	v_mul_f64_e32 v[197:198], s[16:17], v[231:232]
	s_delay_alu instid0(VALU_DEP_2) | instskip(NEXT) | instid1(VALU_DEP_2)
	v_add_f64_e32 v[149:150], v[102:103], v[149:150]
	v_add_f64_e64 v[147:148], v[197:198], -v[147:148]
	v_mul_f64_e32 v[197:198], s[14:15], v[175:176]
	s_delay_alu instid0(VALU_DEP_2) | instskip(NEXT) | instid1(VALU_DEP_2)
	v_add_f64_e32 v[147:148], v[100:101], v[147:148]
	;; [unrolled: 8-line block ×3, first 2 shown]
	v_add_f64_e32 v[131:132], v[131:132], v[197:198]
	v_mul_f64_e32 v[197:198], s[12:13], v[231:232]
	s_delay_alu instid0(VALU_DEP_2) | instskip(NEXT) | instid1(VALU_DEP_2)
	v_add_f64_e32 v[131:132], v[102:103], v[131:132]
	v_add_f64_e64 v[129:130], v[197:198], -v[129:130]
	v_mul_f64_e32 v[197:198], s[0:1], v[175:176]
	v_mul_f64_e32 v[175:176], s[10:11], v[175:176]
	s_wait_loadcnt 0x0
	v_add_f64_e32 v[199:200], v[100:101], v[199:200]
	s_delay_alu instid0(VALU_DEP_4) | instskip(NEXT) | instid1(VALU_DEP_4)
	v_add_f64_e32 v[129:130], v[100:101], v[129:130]
	v_add_f64_e32 v[183:184], v[183:184], v[197:198]
	v_mul_f64_e32 v[197:198], s[0:1], v[231:232]
	v_add_f64_e32 v[171:172], v[171:172], v[175:176]
	v_mul_f64_e32 v[175:176], s[10:11], v[231:232]
	s_delay_alu instid0(VALU_DEP_4) | instskip(NEXT) | instid1(VALU_DEP_4)
	v_add_f64_e32 v[183:184], v[102:103], v[183:184]
	v_add_f64_e64 v[179:180], v[197:198], -v[179:180]
	scratch_load_b64 v[197:198], off, off offset:192 th:TH_LOAD_LU ; 8-byte Folded Reload
	v_add_f64_e64 v[175:176], v[175:176], -v[219:220]
	v_add_f64_e32 v[171:172], v[102:103], v[171:172]
	v_add_f64_e32 v[179:180], v[100:101], v[179:180]
	s_delay_alu instid0(VALU_DEP_3) | instskip(SKIP_1) | instid1(VALU_DEP_1)
	v_add_f64_e32 v[175:176], v[100:101], v[175:176]
	v_mul_f64_e32 v[100:101], s[10:11], v[161:162]
	v_add_f64_e32 v[100:101], v[145:146], v[100:101]
	v_mul_f64_e32 v[145:146], s[14:15], v[189:190]
	s_delay_alu instid0(VALU_DEP_2) | instskip(NEXT) | instid1(VALU_DEP_2)
	v_add_f64_e32 v[100:101], v[100:101], v[153:154]
	v_add_f64_e32 v[126:127], v[126:127], v[145:146]
	v_mul_f64_e32 v[145:146], s[14:15], v[177:178]
	s_delay_alu instid0(VALU_DEP_1) | instskip(SKIP_3) | instid1(VALU_DEP_1)
	v_add_f64_e64 v[145:146], v[145:146], -v[187:188]
	s_wait_loadcnt 0x0
	v_add_f64_e32 v[197:198], v[102:103], v[197:198]
	v_mul_f64_e32 v[102:103], s[10:11], v[157:158]
	v_add_f64_e64 v[102:103], v[102:103], -v[141:142]
	v_mul_f64_e32 v[141:142], s[16:17], v[169:170]
	s_delay_alu instid0(VALU_DEP_2) | instskip(NEXT) | instid1(VALU_DEP_2)
	v_add_f64_e32 v[102:103], v[102:103], v[151:152]
	v_add_f64_e32 v[141:142], v[143:144], v[141:142]
	v_mul_f64_e32 v[143:144], s[16:17], v[165:166]
	v_mul_f64_e32 v[151:152], s[0:1], v[189:190]
	s_delay_alu instid0(VALU_DEP_3) | instskip(NEXT) | instid1(VALU_DEP_3)
	v_add_f64_e32 v[100:101], v[141:142], v[100:101]
	v_add_f64_e64 v[139:140], v[143:144], -v[139:140]
	v_mul_f64_e32 v[143:144], s[0:1], v[181:182]
	v_mul_f64_e32 v[141:142], s[16:17], v[173:174]
	v_add_f64_e32 v[151:152], v[243:244], v[151:152]
	s_delay_alu instid0(VALU_DEP_4) | instskip(NEXT) | instid1(VALU_DEP_4)
	v_add_f64_e32 v[102:103], v[139:140], v[102:103]
	v_add_f64_e32 v[133:134], v[133:134], v[143:144]
	v_mul_f64_e32 v[143:144], s[0:1], v[173:174]
	v_mul_f64_e32 v[139:140], s[12:13], v[193:194]
	s_delay_alu instid0(VALU_DEP_3) | instskip(NEXT) | instid1(VALU_DEP_3)
	v_add_f64_e32 v[100:101], v[133:134], v[100:101]
	v_add_f64_e64 v[143:144], v[143:144], -v[191:192]
	s_delay_alu instid0(VALU_DEP_3) | instskip(SKIP_1) | instid1(VALU_DEP_4)
	v_add_f64_e32 v[124:125], v[124:125], v[139:140]
	v_mul_f64_e32 v[133:134], s[12:13], v[185:186]
	v_add_f64_e32 v[100:101], v[126:127], v[100:101]
	s_delay_alu instid0(VALU_DEP_4)
	v_add_f64_e32 v[102:103], v[143:144], v[102:103]
	scratch_load_b64 v[143:144], off, off offset:312 th:TH_LOAD_LU ; 8-byte Folded Reload
	v_add_f64_e64 v[122:123], v[133:134], -v[122:123]
	s_clause 0x1
	scratch_load_b64 v[133:134], off, off offset:320 th:TH_LOAD_LU
	scratch_load_b64 v[139:140], off, off offset:288 th:TH_LOAD_LU
	v_add_f64_e32 v[126:127], v[145:146], v[102:103]
	v_add_f64_e32 v[102:103], v[124:125], v[100:101]
	scratch_load_b64 v[124:125], off, off offset:296 th:TH_LOAD_LU ; 8-byte Folded Reload
	v_mul_f64_e32 v[145:146], s[12:13], v[177:178]
	v_add_f64_e32 v[100:101], v[122:123], v[126:127]
	scratch_load_b64 v[126:127], off, off offset:280 th:TH_LOAD_LU ; 8-byte Folded Reload
	v_mul_f64_e32 v[122:123], s[14:15], v[161:162]
	v_add_f64_e64 v[145:146], v[145:146], -v[209:210]
	s_wait_loadcnt 0x4
	v_add_f64_e64 v[141:142], v[141:142], -v[143:144]
	v_mul_f64_e32 v[143:144], s[12:13], v[189:190]
	s_wait_loadcnt 0x1
	s_delay_alu instid0(VALU_DEP_4) | instskip(SKIP_1) | instid1(VALU_DEP_3)
	v_add_f64_e32 v[122:123], v[124:125], v[122:123]
	v_mul_f64_e32 v[124:125], s[14:15], v[157:158]
	v_add_f64_e32 v[143:144], v[225:226], v[143:144]
	s_delay_alu instid0(VALU_DEP_3) | instskip(SKIP_1) | instid1(VALU_DEP_3)
	v_add_f64_e32 v[122:123], v[122:123], v[183:184]
	s_wait_loadcnt 0x0
	v_add_f64_e64 v[124:125], v[124:125], -v[126:127]
	v_mul_f64_e32 v[126:127], s[18:19], v[169:170]
	s_delay_alu instid0(VALU_DEP_2) | instskip(NEXT) | instid1(VALU_DEP_2)
	v_add_f64_e32 v[124:125], v[124:125], v[179:180]
	v_add_f64_e32 v[126:127], v[133:134], v[126:127]
	v_mul_f64_e32 v[133:134], s[18:19], v[165:166]
	s_delay_alu instid0(VALU_DEP_2) | instskip(NEXT) | instid1(VALU_DEP_2)
	v_add_f64_e32 v[122:123], v[126:127], v[122:123]
	v_add_f64_e64 v[133:134], v[133:134], -v[139:140]
	v_mul_f64_e32 v[139:140], s[16:17], v[181:182]
	v_mul_f64_e32 v[126:127], s[10:11], v[193:194]
	s_delay_alu instid0(VALU_DEP_3) | instskip(NEXT) | instid1(VALU_DEP_3)
	v_add_f64_e32 v[124:125], v[133:134], v[124:125]
	v_add_f64_e32 v[139:140], v[211:212], v[139:140]
	v_mul_f64_e32 v[133:134], s[10:11], v[185:186]
	s_delay_alu instid0(VALU_DEP_4) | instskip(NEXT) | instid1(VALU_DEP_4)
	v_add_f64_e32 v[126:127], v[229:230], v[126:127]
	v_add_f64_e32 v[124:125], v[141:142], v[124:125]
	s_delay_alu instid0(VALU_DEP_4) | instskip(NEXT) | instid1(VALU_DEP_4)
	v_add_f64_e32 v[122:123], v[139:140], v[122:123]
	v_add_f64_e64 v[133:134], v[133:134], -v[207:208]
	v_mul_f64_e32 v[141:142], s[14:15], v[165:166]
	s_delay_alu instid0(VALU_DEP_4) | instskip(NEXT) | instid1(VALU_DEP_4)
	v_add_f64_e32 v[139:140], v[145:146], v[124:125]
	v_add_f64_e32 v[122:123], v[143:144], v[122:123]
	v_mul_f64_e32 v[143:144], s[10:11], v[181:182]
	s_delay_alu instid0(VALU_DEP_4) | instskip(SKIP_1) | instid1(VALU_DEP_4)
	v_add_f64_e64 v[141:142], v[141:142], -v[213:214]
	v_mul_f64_e32 v[145:146], s[10:11], v[173:174]
	v_add_f64_e32 v[124:125], v[126:127], v[122:123]
	v_add_f64_e32 v[122:123], v[133:134], v[139:140]
	scratch_load_b64 v[139:140], off, off offset:304 th:TH_LOAD_LU ; 8-byte Folded Reload
	v_mul_f64_e32 v[126:127], s[18:19], v[161:162]
	v_mul_f64_e32 v[133:134], s[18:19], v[157:158]
	v_add_f64_e32 v[143:144], v[237:238], v[143:144]
	v_add_f64_e64 v[145:146], v[145:146], -v[223:224]
	s_delay_alu instid0(VALU_DEP_4) | instskip(NEXT) | instid1(VALU_DEP_1)
	v_add_f64_e32 v[126:127], v[217:218], v[126:127]
	v_add_f64_e32 v[126:127], v[126:127], v[131:132]
	v_mul_f64_e32 v[131:132], s[0:1], v[177:178]
	s_delay_alu instid0(VALU_DEP_1) | instskip(SKIP_3) | instid1(VALU_DEP_2)
	v_add_f64_e64 v[131:132], v[131:132], -v[227:228]
	s_wait_loadcnt 0x0
	v_add_f64_e64 v[133:134], v[133:134], -v[139:140]
	v_mul_f64_e32 v[139:140], s[14:15], v[169:170]
	v_add_f64_e32 v[129:130], v[133:134], v[129:130]
	s_delay_alu instid0(VALU_DEP_2) | instskip(SKIP_1) | instid1(VALU_DEP_3)
	v_add_f64_e32 v[139:140], v[233:234], v[139:140]
	v_mul_f64_e32 v[133:134], s[16:17], v[193:194]
	v_add_f64_e32 v[129:130], v[141:142], v[129:130]
	s_delay_alu instid0(VALU_DEP_3) | instskip(NEXT) | instid1(VALU_DEP_3)
	v_add_f64_e32 v[126:127], v[139:140], v[126:127]
	v_add_f64_e32 v[133:134], v[239:240], v[133:134]
	v_mul_f64_e32 v[139:140], s[16:17], v[185:186]
	v_mul_f64_e32 v[141:142], s[10:11], v[165:166]
	v_add_f64_e32 v[129:130], v[145:146], v[129:130]
	v_add_f64_e32 v[126:127], v[143:144], v[126:127]
	v_mul_f64_e32 v[143:144], s[12:13], v[181:182]
	v_add_f64_e64 v[139:140], v[139:140], -v[215:216]
	v_add_f64_e64 v[141:142], v[141:142], -v[235:236]
	v_mul_f64_e32 v[145:146], s[12:13], v[173:174]
	v_add_f64_e32 v[129:130], v[131:132], v[129:130]
	v_add_f64_e32 v[126:127], v[151:152], v[126:127]
	;; [unrolled: 1-line block ×3, first 2 shown]
	v_mul_f64_e32 v[151:152], s[18:19], v[189:190]
	v_add_f64_e64 v[145:146], v[145:146], -v[241:242]
	v_add_f64_e32 v[129:130], v[139:140], v[129:130]
	v_add_f64_e32 v[131:132], v[133:134], v[126:127]
	v_mul_f64_e32 v[126:127], s[16:17], v[161:162]
	v_mul_f64_e32 v[133:134], s[16:17], v[157:158]
	v_mul_f64_e32 v[139:140], s[10:11], v[169:170]
	v_add_f64_e32 v[108:109], v[108:109], v[151:152]
	s_delay_alu instid0(VALU_DEP_4) | instskip(NEXT) | instid1(VALU_DEP_4)
	v_add_f64_e32 v[126:127], v[245:246], v[126:127]
	v_add_f64_e64 v[133:134], v[133:134], -v[221:222]
	s_delay_alu instid0(VALU_DEP_4) | instskip(NEXT) | instid1(VALU_DEP_3)
	v_add_f64_e32 v[139:140], v[251:252], v[139:140]
	v_add_f64_e32 v[126:127], v[126:127], v[137:138]
	s_delay_alu instid0(VALU_DEP_3) | instskip(SKIP_2) | instid1(VALU_DEP_4)
	v_add_f64_e32 v[133:134], v[133:134], v[135:136]
	v_mul_f64_e32 v[135:136], s[18:19], v[177:178]
	v_mul_f64_e32 v[137:138], s[0:1], v[193:194]
	v_add_f64_e32 v[126:127], v[139:140], v[126:127]
	s_delay_alu instid0(VALU_DEP_4) | instskip(NEXT) | instid1(VALU_DEP_4)
	v_add_f64_e32 v[133:134], v[141:142], v[133:134]
	v_add_f64_e64 v[135:136], v[135:136], -v[247:248]
	s_delay_alu instid0(VALU_DEP_4) | instskip(SKIP_4) | instid1(VALU_DEP_4)
	v_add_f64_e32 v[112:113], v[112:113], v[137:138]
	v_mul_f64_e32 v[137:138], s[0:1], v[185:186]
	v_mul_f64_e32 v[139:140], s[10:11], v[177:178]
	v_add_f64_e32 v[126:127], v[143:144], v[126:127]
	v_add_f64_e32 v[133:134], v[145:146], v[133:134]
	v_add_f64_e64 v[137:138], v[137:138], -v[249:250]
	s_delay_alu instid0(VALU_DEP_4) | instskip(NEXT) | instid1(VALU_DEP_4)
	v_add_f64_e64 v[116:117], v[139:140], -v[116:117]
	v_add_f64_e32 v[108:109], v[108:109], v[126:127]
	s_delay_alu instid0(VALU_DEP_4) | instskip(NEXT) | instid1(VALU_DEP_2)
	v_add_f64_e32 v[126:127], v[135:136], v[133:134]
	v_add_f64_e32 v[135:136], v[112:113], v[108:109]
	s_delay_alu instid0(VALU_DEP_2) | instskip(SKIP_4) | instid1(VALU_DEP_4)
	v_add_f64_e32 v[133:134], v[137:138], v[126:127]
	v_mul_f64_e32 v[108:109], s[12:13], v[161:162]
	v_mul_f64_e32 v[137:138], s[0:1], v[165:166]
	;; [unrolled: 1-line block ×4, first 2 shown]
	v_add_f64_e32 v[108:109], v[159:160], v[108:109]
	s_delay_alu instid0(VALU_DEP_4) | instskip(SKIP_4) | instid1(VALU_DEP_4)
	v_add_f64_e64 v[106:107], v[137:138], -v[106:107]
	v_mul_f64_e32 v[137:138], s[18:19], v[181:182]
	v_add_f64_e64 v[112:113], v[112:113], -v[253:254]
	v_add_f64_e32 v[126:127], v[163:164], v[126:127]
	v_add_f64_e32 v[108:109], v[108:109], v[149:150]
	;; [unrolled: 1-line block ×3, first 2 shown]
	v_mul_f64_e32 v[137:138], s[18:19], v[173:174]
	v_add_f64_e32 v[112:113], v[112:113], v[147:148]
	s_delay_alu instid0(VALU_DEP_4)
	v_add_f64_e32 v[108:109], v[126:127], v[108:109]
	scratch_load_b64 v[126:127], off, off offset:232 th:TH_LOAD_LU ; 8-byte Folded Reload
	v_add_f64_e64 v[114:115], v[137:138], -v[114:115]
	v_mul_f64_e32 v[137:138], s[10:11], v[189:190]
	v_add_f64_e32 v[106:107], v[106:107], v[112:113]
	v_mul_f64_e32 v[112:113], s[14:15], v[193:194]
	v_add_f64_e32 v[108:109], v[118:119], v[108:109]
	scratch_load_b64 v[118:119], off, off offset:216 th:TH_LOAD_LU ; 8-byte Folded Reload
	v_add_f64_e32 v[137:138], v[167:168], v[137:138]
	v_add_f64_e32 v[106:107], v[114:115], v[106:107]
	;; [unrolled: 1-line block ×3, first 2 shown]
	v_mul_f64_e32 v[114:115], s[14:15], v[185:186]
	scratch_load_b64 v[120:121], off, off offset:248 th:TH_LOAD_LU ; 8-byte Folded Reload
	v_add_f64_e32 v[108:109], v[137:138], v[108:109]
	scratch_load_b64 v[137:138], off, off offset:264 th:TH_LOAD_LU ; 8-byte Folded Reload
	v_add_f64_e32 v[106:107], v[116:117], v[106:107]
	v_add_f64_e64 v[110:111], v[114:115], -v[110:111]
	s_clause 0x2
	scratch_load_b64 v[114:115], off, off offset:200 th:TH_LOAD_LU
	scratch_load_b64 v[116:117], off, off offset:224 th:TH_LOAD_LU
	;; [unrolled: 1-line block ×3, first 2 shown]
	v_add_f64_e32 v[108:109], v[112:113], v[108:109]
	scratch_load_b64 v[112:113], off, off offset:208 th:TH_LOAD_LU ; 8-byte Folded Reload
	v_add_f64_e32 v[106:107], v[110:111], v[106:107]
	v_mul_f64_e32 v[110:111], s[0:1], v[161:162]
	s_wait_loadcnt 0x0
	s_delay_alu instid0(VALU_DEP_1) | instskip(SKIP_1) | instid1(VALU_DEP_2)
	v_add_f64_e32 v[110:111], v[112:113], v[110:111]
	v_mul_f64_e32 v[112:113], s[0:1], v[157:158]
	v_add_f64_e32 v[110:111], v[110:111], v[171:172]
	s_delay_alu instid0(VALU_DEP_2) | instskip(SKIP_1) | instid1(VALU_DEP_2)
	v_add_f64_e64 v[112:113], v[112:113], -v[114:115]
	v_mul_f64_e32 v[114:115], s[12:13], v[169:170]
	v_add_f64_e32 v[112:113], v[112:113], v[175:176]
	s_delay_alu instid0(VALU_DEP_2) | instskip(SKIP_1) | instid1(VALU_DEP_2)
	v_add_f64_e32 v[114:115], v[116:117], v[114:115]
	v_mul_f64_e32 v[116:117], s[12:13], v[165:166]
	v_add_f64_e32 v[110:111], v[114:115], v[110:111]
	s_delay_alu instid0(VALU_DEP_2) | instskip(SKIP_2) | instid1(VALU_DEP_3)
	v_add_f64_e64 v[116:117], v[116:117], -v[118:119]
	v_mul_f64_e32 v[118:119], s[14:15], v[181:182]
	v_mul_f64_e32 v[114:115], s[18:19], v[193:194]
	v_add_f64_e32 v[112:113], v[116:117], v[112:113]
	s_delay_alu instid0(VALU_DEP_3)
	v_add_f64_e32 v[118:119], v[120:121], v[118:119]
	scratch_load_b64 v[116:117], off, off offset:272 th:TH_LOAD_LU ; 8-byte Folded Reload
	v_mul_f64_e32 v[120:121], s[14:15], v[173:174]
	v_add_f64_e32 v[110:111], v[118:119], v[110:111]
	scratch_load_b64 v[118:119], off, off offset:256 th:TH_LOAD_LU ; 8-byte Folded Reload
	v_add_f64_e64 v[120:121], v[120:121], -v[126:127]
	v_mul_f64_e32 v[126:127], s[16:17], v[189:190]
	s_delay_alu instid0(VALU_DEP_2) | instskip(NEXT) | instid1(VALU_DEP_2)
	v_add_f64_e32 v[112:113], v[120:121], v[112:113]
	v_add_f64_e32 v[126:127], v[137:138], v[126:127]
	v_mul_f64_e32 v[137:138], s[16:17], v[177:178]
	s_delay_alu instid0(VALU_DEP_2) | instskip(NEXT) | instid1(VALU_DEP_2)
	v_add_f64_e32 v[110:111], v[126:127], v[110:111]
	v_add_f64_e64 v[137:138], v[137:138], -v[139:140]
	s_wait_loadcnt 0x1
	v_add_f64_e32 v[114:115], v[116:117], v[114:115]
	v_mul_f64_e32 v[116:117], s[18:19], v[185:186]
	s_wait_loadcnt 0x0
	s_delay_alu instid0(VALU_DEP_1) | instskip(NEXT) | instid1(VALU_DEP_4)
	v_add_f64_e64 v[116:117], v[116:117], -v[118:119]
	v_add_f64_e32 v[118:119], v[137:138], v[112:113]
	s_delay_alu instid0(VALU_DEP_4)
	v_add_f64_e32 v[112:113], v[114:115], v[110:111]
	scratch_load_b64 v[114:115], off, off offset:48 th:TH_LOAD_LU ; 8-byte Folded Reload
	v_add_f64_e32 v[110:111], v[116:117], v[118:119]
	s_clause 0x1
	scratch_load_b64 v[118:119], off, off offset:64 th:TH_LOAD_LU
	scratch_load_b64 v[116:117], off, off offset:40 th:TH_LOAD_LU
	s_wait_loadcnt 0x2
	v_add_f64_e32 v[114:115], v[197:198], v[114:115]
	s_wait_loadcnt 0x1
	s_delay_alu instid0(VALU_DEP_1) | instskip(SKIP_4) | instid1(VALU_DEP_1)
	v_add_f64_e32 v[114:115], v[114:115], v[118:119]
	scratch_load_b64 v[118:119], off, off offset:56 th:TH_LOAD_LU ; 8-byte Folded Reload
	s_wait_loadcnt 0x1
	v_add_f64_e32 v[116:117], v[199:200], v[116:117]
	s_wait_loadcnt 0x0
	v_add_f64_e32 v[116:117], v[116:117], v[118:119]
	scratch_load_b64 v[118:119], off, off offset:112 th:TH_LOAD_LU ; 8-byte Folded Reload
	s_wait_loadcnt 0x0
	v_add_f64_e32 v[114:115], v[114:115], v[118:119]
	scratch_load_b64 v[118:119], off, off offset:104 th:TH_LOAD_LU ; 8-byte Folded Reload
	;; [unrolled: 3-line block ×18, first 2 shown]
	s_wait_loadcnt 0x0
	v_add_f64_e32 v[114:115], v[118:119], v[114:115]
	scratch_load_b32 v118, off, off offset:4 ; 4-byte Folded Reload
	s_wait_loadcnt 0x0
	v_lshl_add_u32 v118, v201, 4, v118
	ds_store_b128 v118, v[122:125] offset:224
	ds_store_b128 v118, v[129:132] offset:336
	;; [unrolled: 1-line block ×11, first 2 shown]
	ds_store_b128 v255, v[114:117]
	ds_store_b128 v118, v[76:79] offset:1344
.LBB0_5:
	s_wait_alu 0xfffe
	s_or_b32 exec_lo, exec_lo, s20
	s_add_nc_u64 s[0:1], s[8:9], 0x5b0
	global_wb scope:SCOPE_SE
	s_wait_storecnt 0x0
	s_wait_loadcnt_dscnt 0x0
	s_barrier_signal -1
	s_barrier_wait -1
	global_inv scope:SCOPE_SE
	s_clause 0x6
	global_load_b128 v[100:103], v[104:105], off offset:1456
	global_load_b128 v[104:107], v195, s[0:1] offset:208
	global_load_b128 v[108:111], v195, s[0:1] offset:416
	;; [unrolled: 1-line block ×6, first 2 shown]
	ds_load_b128 v[129:132], v255
	ds_load_b128 v[133:136], v255 offset:208
	ds_load_b128 v[137:140], v255 offset:416
	;; [unrolled: 1-line block ×6, first 2 shown]
	s_mov_b32 s0, 0x37e14327
	s_mov_b32 s1, 0x3fe948f6
	;; [unrolled: 1-line block ×10, first 2 shown]
	s_wait_loadcnt_dscnt 0x606
	v_mul_f64_e32 v[157:158], v[131:132], v[102:103]
	v_mul_f64_e32 v[102:103], v[129:130], v[102:103]
	s_wait_loadcnt_dscnt 0x505
	v_mul_f64_e32 v[159:160], v[135:136], v[106:107]
	v_mul_f64_e32 v[106:107], v[133:134], v[106:107]
	;; [unrolled: 3-line block ×7, first 2 shown]
	v_fma_f64 v[129:130], v[129:130], v[100:101], -v[157:158]
	v_fma_f64 v[131:132], v[131:132], v[100:101], v[102:103]
	v_fma_f64 v[100:101], v[133:134], v[104:105], -v[159:160]
	v_fma_f64 v[102:103], v[135:136], v[104:105], v[106:107]
	v_fma_f64 v[104:105], v[137:138], v[108:109], -v[161:162]
	v_fma_f64 v[106:107], v[139:140], v[108:109], v[110:111]
	v_fma_f64 v[108:109], v[141:142], v[112:113], -v[163:164]
	v_fma_f64 v[110:111], v[143:144], v[112:113], v[114:115]
	v_fma_f64 v[112:113], v[145:146], v[116:117], -v[165:166]
	v_fma_f64 v[114:115], v[147:148], v[116:117], v[118:119]
	v_fma_f64 v[116:117], v[149:150], v[120:121], -v[167:168]
	v_fma_f64 v[118:119], v[151:152], v[120:121], v[122:123]
	v_fma_f64 v[120:121], v[153:154], v[124:125], -v[169:170]
	v_fma_f64 v[122:123], v[155:156], v[124:125], v[126:127]
	ds_store_b128 v255, v[129:132]
	ds_store_b128 v255, v[100:103] offset:208
	ds_store_b128 v255, v[104:107] offset:416
	;; [unrolled: 1-line block ×6, first 2 shown]
	global_wb scope:SCOPE_SE
	s_wait_dscnt 0x0
	s_barrier_signal -1
	s_barrier_wait -1
	global_inv scope:SCOPE_SE
	ds_load_b128 v[100:103], v255 offset:208
	ds_load_b128 v[104:107], v255 offset:1248
	;; [unrolled: 1-line block ×6, first 2 shown]
	s_wait_dscnt 0x4
	v_add_f64_e32 v[124:125], v[100:101], v[104:105]
	v_add_f64_e32 v[126:127], v[102:103], v[106:107]
	s_wait_dscnt 0x2
	v_add_f64_e32 v[129:130], v[112:113], v[108:109]
	v_add_f64_e32 v[131:132], v[114:115], v[110:111]
	;; [unrolled: 3-line block ×3, first 2 shown]
	v_add_f64_e64 v[108:109], v[112:113], -v[108:109]
	v_add_f64_e64 v[110:111], v[114:115], -v[110:111]
	;; [unrolled: 1-line block ×6, first 2 shown]
	v_add_f64_e32 v[100:101], v[129:130], v[124:125]
	v_add_f64_e32 v[102:103], v[131:132], v[126:127]
	v_add_f64_e64 v[116:117], v[124:125], -v[133:134]
	v_add_f64_e64 v[118:119], v[126:127], -v[135:136]
	;; [unrolled: 1-line block ×10, first 2 shown]
	v_add_f64_e32 v[108:109], v[112:113], v[108:109]
	v_add_f64_e32 v[110:111], v[114:115], v[110:111]
	v_add_f64_e64 v[112:113], v[104:105], -v[112:113]
	v_add_f64_e64 v[114:115], v[106:107], -v[114:115]
	v_add_f64_e32 v[133:134], v[133:134], v[100:101]
	v_add_f64_e32 v[135:136], v[135:136], v[102:103]
	ds_load_b128 v[100:103], v255
	s_wait_alu 0xfffe
	v_mul_f64_e32 v[116:117], s[0:1], v[116:117]
	v_mul_f64_e32 v[118:119], s[0:1], v[118:119]
	s_mov_b32 s0, 0x429ad128
	v_mul_f64_e32 v[129:130], s[8:9], v[120:121]
	v_mul_f64_e32 v[131:132], s[8:9], v[122:123]
	;; [unrolled: 1-line block ×4, first 2 shown]
	s_mov_b32 s1, 0xbfebfeb5
	s_mov_b32 s10, 0xaaaaaaaa
	s_wait_alu 0xfffe
	v_mul_f64_e32 v[145:146], s[0:1], v[141:142]
	v_mul_f64_e32 v[147:148], s[0:1], v[143:144]
	s_mov_b32 s11, 0xbff2aaaa
	v_add_f64_e32 v[104:105], v[108:109], v[104:105]
	v_add_f64_e32 v[106:107], v[110:111], v[106:107]
	global_wb scope:SCOPE_SE
	s_wait_dscnt 0x0
	s_barrier_signal -1
	s_barrier_wait -1
	global_inv scope:SCOPE_SE
	v_add_f64_e32 v[100:101], v[100:101], v[133:134]
	v_add_f64_e32 v[102:103], v[102:103], v[135:136]
	v_fma_f64 v[108:109], v[120:121], s[8:9], v[116:117]
	v_fma_f64 v[110:111], v[122:123], s[8:9], v[118:119]
	v_fma_f64 v[120:121], v[124:125], s[12:13], -v[129:130]
	v_fma_f64 v[122:123], v[126:127], s[12:13], -v[131:132]
	s_mov_b32 s13, 0xbfe77f67
	v_fma_f64 v[129:130], v[112:113], s[14:15], v[137:138]
	v_fma_f64 v[131:132], v[114:115], s[14:15], v[139:140]
	s_mov_b32 s15, 0x3fd5d0dc
	v_fma_f64 v[137:138], v[141:142], s[0:1], -v[137:138]
	v_fma_f64 v[139:140], v[143:144], s[0:1], -v[139:140]
	s_wait_alu 0xfffe
	v_fma_f64 v[112:113], v[112:113], s[14:15], -v[145:146]
	v_fma_f64 v[114:115], v[114:115], s[14:15], -v[147:148]
	;; [unrolled: 1-line block ×4, first 2 shown]
	s_mov_b32 s0, 0x37c3f68c
	s_mov_b32 s1, 0xbfdc38aa
	v_fma_f64 v[133:134], v[133:134], s[10:11], v[100:101]
	v_fma_f64 v[135:136], v[135:136], s[10:11], v[102:103]
	s_wait_alu 0xfffe
	v_fma_f64 v[126:127], v[104:105], s[0:1], v[129:130]
	v_fma_f64 v[124:125], v[106:107], s[0:1], v[131:132]
	;; [unrolled: 1-line block ×6, first 2 shown]
	v_add_f64_e32 v[141:142], v[108:109], v[133:134]
	v_add_f64_e32 v[143:144], v[110:111], v[135:136]
	;; [unrolled: 1-line block ×7, first 2 shown]
	v_add_f64_e64 v[110:111], v[143:144], -v[126:127]
	v_add_f64_e32 v[104:105], v[145:146], v[139:140]
	v_add_f64_e64 v[106:107], v[147:148], -v[137:138]
	v_add_f64_e64 v[112:113], v[116:117], -v[131:132]
	v_add_f64_e32 v[114:115], v[129:130], v[118:119]
	v_add_f64_e32 v[116:117], v[116:117], v[131:132]
	v_add_f64_e64 v[118:119], v[118:119], -v[129:130]
	v_add_f64_e64 v[120:121], v[145:146], -v[139:140]
	v_add_f64_e32 v[122:123], v[137:138], v[147:148]
	v_add_f64_e64 v[124:125], v[141:142], -v[124:125]
	v_add_f64_e32 v[126:127], v[126:127], v[143:144]
	ds_store_b128 v196, v[100:103]
	ds_store_b128 v196, v[108:111] offset:16
	ds_store_b128 v196, v[104:107] offset:32
	;; [unrolled: 1-line block ×6, first 2 shown]
	global_wb scope:SCOPE_SE
	s_wait_dscnt 0x0
	s_barrier_signal -1
	s_barrier_wait -1
	global_inv scope:SCOPE_SE
	s_and_saveexec_b32 s0, vcc_lo
	s_cbranch_execz .LBB0_7
; %bb.6:
	ds_load_b128 v[100:103], v255
	ds_load_b128 v[108:111], v255 offset:112
	ds_load_b128 v[104:107], v255 offset:224
	;; [unrolled: 1-line block ×12, first 2 shown]
.LBB0_7:
	s_wait_alu 0xfffe
	s_or_b32 exec_lo, exec_lo, s0
	s_and_saveexec_b32 s33, vcc_lo
	s_cbranch_execz .LBB0_9
; %bb.8:
	s_wait_dscnt 0x6
	v_mul_f64_e32 v[129:130], v[70:71], v[126:127]
	v_mul_f64_e32 v[70:71], v[70:71], v[124:125]
	s_mov_b32 s35, 0x3fddbe06
	s_mov_b32 s34, 0x4267c47c
	;; [unrolled: 1-line block ×14, first 2 shown]
	s_wait_alu 0xfffe
	s_mov_b32 s30, s26
	s_mov_b32 s28, s24
	;; [unrolled: 1-line block ×16, first 2 shown]
	s_delay_alu instid0(VALU_DEP_2) | instskip(NEXT) | instid1(VALU_DEP_2)
	v_fma_f64 v[129:130], v[68:69], v[124:125], v[129:130]
	v_fma_f64 v[70:71], v[68:69], v[126:127], -v[70:71]
	s_wait_dscnt 0x5
	v_mul_f64_e32 v[68:69], v[74:75], v[98:99]
	v_mul_f64_e32 v[74:75], v[74:75], v[96:97]
	s_delay_alu instid0(VALU_DEP_2) | instskip(NEXT) | instid1(VALU_DEP_2)
	v_fma_f64 v[68:69], v[72:73], v[96:97], v[68:69]
	v_fma_f64 v[72:73], v[72:73], v[98:99], -v[74:75]
	v_mul_f64_e32 v[74:75], v[62:63], v[122:123]
	v_mul_f64_e32 v[62:63], v[62:63], v[120:121]
	s_delay_alu instid0(VALU_DEP_4) | instskip(NEXT) | instid1(VALU_DEP_4)
	v_add_f64_e32 v[199:200], v[129:130], v[68:69]
	v_add_f64_e32 v[195:196], v[70:71], v[72:73]
	s_delay_alu instid0(VALU_DEP_4) | instskip(NEXT) | instid1(VALU_DEP_4)
	v_fma_f64 v[74:75], v[60:61], v[120:121], v[74:75]
	v_fma_f64 v[60:61], v[60:61], v[122:123], -v[62:63]
	v_mul_f64_e32 v[62:63], v[30:31], v[110:111]
	v_mul_f64_e32 v[30:31], v[30:31], v[108:109]
	s_delay_alu instid0(VALU_DEP_2) | instskip(NEXT) | instid1(VALU_DEP_2)
	v_fma_f64 v[96:97], v[28:29], v[108:109], v[62:63]
	v_fma_f64 v[98:99], v[28:29], v[110:111], -v[30:31]
	s_wait_dscnt 0x4
	v_mul_f64_e32 v[28:29], v[66:67], v[94:95]
	v_mul_f64_e32 v[30:31], v[66:67], v[92:93]
	;; [unrolled: 1-line block ×4, first 2 shown]
	v_add_f64_e32 v[171:172], v[100:101], v[96:97]
	v_fma_f64 v[28:29], v[64:65], v[92:93], v[28:29]
	v_fma_f64 v[30:31], v[64:65], v[94:95], -v[30:31]
	v_fma_f64 v[62:63], v[52:53], v[116:117], v[62:63]
	v_fma_f64 v[64:65], v[52:53], v[118:119], -v[54:55]
	s_wait_dscnt 0x3
	v_mul_f64_e32 v[52:53], v[58:59], v[90:91]
	v_mul_f64_e32 v[54:55], v[58:59], v[88:89]
	v_add_f64_e64 v[66:67], v[74:75], -v[28:29]
	s_delay_alu instid0(VALU_DEP_3) | instskip(NEXT) | instid1(VALU_DEP_3)
	v_fma_f64 v[52:53], v[56:57], v[88:89], v[52:53]
	v_fma_f64 v[54:55], v[56:57], v[90:91], -v[54:55]
	v_mul_f64_e32 v[56:57], v[46:47], v[114:115]
	v_mul_f64_e32 v[46:47], v[46:47], v[112:113]
	;; [unrolled: 1-line block ×4, first 2 shown]
	s_wait_alu 0xfffe
	v_mul_f64_e32 v[219:220], s[30:31], v[66:67]
	v_add_f64_e32 v[183:184], v[62:63], v[52:53]
	v_add_f64_e32 v[181:182], v[64:65], v[54:55]
	v_fma_f64 v[56:57], v[44:45], v[112:113], v[56:57]
	v_fma_f64 v[58:59], v[44:45], v[114:115], -v[46:47]
	s_wait_dscnt 0x2
	v_mul_f64_e32 v[44:45], v[50:51], v[86:87]
	v_mul_f64_e32 v[46:47], v[50:51], v[84:85]
	;; [unrolled: 1-line block ×3, first 2 shown]
	s_delay_alu instid0(VALU_DEP_3) | instskip(NEXT) | instid1(VALU_DEP_3)
	v_fma_f64 v[44:45], v[48:49], v[84:85], v[44:45]
	v_fma_f64 v[46:47], v[48:49], v[86:87], -v[46:47]
	v_mul_f64_e32 v[48:49], v[38:39], v[106:107]
	v_mul_f64_e32 v[38:39], v[38:39], v[104:105]
	s_delay_alu instid0(VALU_DEP_4) | instskip(NEXT) | instid1(VALU_DEP_4)
	v_add_f64_e64 v[84:85], v[56:57], -v[44:45]
	v_add_f64_e32 v[177:178], v[58:59], v[46:47]
	s_delay_alu instid0(VALU_DEP_4) | instskip(NEXT) | instid1(VALU_DEP_4)
	v_fma_f64 v[48:49], v[36:37], v[104:105], v[48:49]
	v_fma_f64 v[50:51], v[36:37], v[106:107], -v[38:39]
	s_wait_dscnt 0x1
	v_mul_f64_e32 v[36:37], v[42:43], v[82:83]
	v_mul_f64_e32 v[38:39], v[42:43], v[80:81]
	v_add_f64_e64 v[42:43], v[129:130], -v[68:69]
	v_add_f64_e32 v[179:180], v[56:57], v[44:45]
	v_mul_f64_e32 v[106:107], s[34:35], v[84:85]
	v_fma_f64 v[36:37], v[40:41], v[80:81], v[36:37]
	v_fma_f64 v[40:41], v[40:41], v[82:83], -v[38:39]
	s_wait_dscnt 0x0
	v_mul_f64_e32 v[38:39], v[34:35], v[78:79]
	v_mul_f64_e32 v[34:35], v[34:35], v[76:77]
	v_add_f64_e64 v[82:83], v[58:59], -v[46:47]
	v_add_f64_e64 v[80:81], v[62:63], -v[52:53]
	v_mul_f64_e32 v[90:91], s[34:35], v[42:43]
	v_mul_f64_e32 v[197:198], s[24:25], v[42:43]
	;; [unrolled: 1-line block ×3, first 2 shown]
	v_add_f64_e64 v[88:89], v[48:49], -v[36:37]
	v_add_f64_e64 v[86:87], v[50:51], -v[40:41]
	v_fma_f64 v[38:39], v[32:33], v[76:77], v[38:39]
	v_fma_f64 v[32:33], v[32:33], v[78:79], -v[34:35]
	v_add_f64_e64 v[34:35], v[60:61], -v[30:31]
	v_add_f64_e64 v[78:79], v[64:65], -v[54:55]
	;; [unrolled: 1-line block ×3, first 2 shown]
	v_mul_f64_e32 v[108:109], s[34:35], v[82:83]
	v_mul_f64_e32 v[94:95], s[34:35], v[80:81]
	v_add_f64_e32 v[173:174], v[50:51], v[40:41]
	v_add_f64_e32 v[175:176], v[48:49], v[36:37]
	v_mul_f64_e32 v[203:204], s[18:19], v[82:83]
	v_mul_f64_e32 v[205:206], s[36:37], v[80:81]
	v_add_f64_e32 v[48:49], v[171:172], v[48:49]
	v_mul_f64_e32 v[110:111], s[34:35], v[88:89]
	v_mul_f64_e32 v[112:113], s[34:35], v[86:87]
	v_add_f64_e64 v[118:119], v[96:97], -v[38:39]
	v_add_f64_e32 v[133:134], v[98:99], v[32:33]
	v_mul_f64_e32 v[116:117], s[34:35], v[34:35]
	v_mul_f64_e32 v[104:105], s[34:35], v[78:79]
	;; [unrolled: 1-line block ×3, first 2 shown]
	s_mov_b32 s35, 0xbfddbe06
	v_add_f64_e32 v[157:158], v[96:97], v[38:39]
	v_mul_f64_e32 v[191:192], s[20:21], v[34:35]
	v_mul_f64_e32 v[201:202], s[24:25], v[76:77]
	v_mul_f64_e32 v[207:208], s[36:37], v[78:79]
	v_mul_f64_e32 v[211:212], s[24:25], v[34:35]
	v_mul_f64_e32 v[213:214], s[18:19], v[88:89]
	v_mul_f64_e32 v[215:216], s[18:19], v[86:87]
	v_mul_f64_e32 v[221:222], s[30:31], v[34:35]
	v_add_f64_e32 v[48:49], v[48:49], v[56:57]
	v_mul_f64_e32 v[120:121], s[18:19], v[118:119]
	v_mul_f64_e32 v[122:123], s[16:17], v[118:119]
	;; [unrolled: 1-line block ×5, first 2 shown]
	s_wait_alu 0xfffe
	v_mul_f64_e32 v[118:119], s[34:35], v[118:119]
	v_add_f64_e32 v[48:49], v[48:49], v[62:63]
	v_fma_f64 v[135:136], v[133:134], s[14:15], v[120:121]
	v_fma_f64 v[120:121], v[133:134], s[14:15], -v[120:121]
	v_fma_f64 v[137:138], v[133:134], s[8:9], v[122:123]
	v_fma_f64 v[122:123], v[133:134], s[8:9], -v[122:123]
	;; [unrolled: 2-line block ×6, first 2 shown]
	v_add_f64_e64 v[133:134], v[98:99], -v[32:33]
	v_add_f64_e32 v[48:49], v[48:49], v[74:75]
	v_add_f64_e32 v[96:97], v[102:103], v[135:136]
	v_add_f64_e32 v[120:121], v[102:103], v[120:121]
	v_add_f64_e32 v[137:138], v[102:103], v[137:138]
	v_add_f64_e32 v[122:123], v[102:103], v[122:123]
	v_add_f64_e32 v[139:140], v[102:103], v[139:140]
	v_add_f64_e32 v[141:142], v[102:103], v[141:142]
	v_add_f64_e32 v[126:127], v[102:103], v[126:127]
	v_add_f64_e32 v[143:144], v[102:103], v[143:144]
	v_add_f64_e32 v[145:146], v[102:103], v[145:146]
	v_mul_f64_e32 v[147:148], s[18:19], v[133:134]
	v_mul_f64_e32 v[149:150], s[16:17], v[133:134]
	;; [unrolled: 1-line block ×6, first 2 shown]
	s_mov_b32 s35, 0x3fcea1e5
	s_mov_b32 s34, s18
	v_add_f64_e32 v[48:49], v[48:49], v[129:130]
	v_fma_f64 v[159:160], v[157:158], s[14:15], -v[147:148]
	v_fma_f64 v[147:148], v[157:158], s[14:15], v[147:148]
	v_fma_f64 v[161:162], v[157:158], s[8:9], -v[149:150]
	v_fma_f64 v[149:150], v[157:158], s[8:9], v[149:150]
	;; [unrolled: 2-line block ×5, first 2 shown]
	v_fma_f64 v[169:170], v[157:158], s[22:23], v[133:134]
	v_fma_f64 v[133:134], v[157:158], s[22:23], -v[133:134]
	v_add_f64_e32 v[157:158], v[102:103], v[98:99]
	v_add_f64_e32 v[48:49], v[48:49], v[68:69]
	v_add_f64_e32 v[98:99], v[100:101], v[159:160]
	v_add_f64_e32 v[135:136], v[100:101], v[147:148]
	v_add_f64_e32 v[147:148], v[100:101], v[161:162]
	v_add_f64_e32 v[149:150], v[100:101], v[149:150]
	v_add_f64_e32 v[159:160], v[100:101], v[163:164]
	v_add_f64_e32 v[161:162], v[102:103], v[124:125]
	v_add_f64_e32 v[151:152], v[100:101], v[151:152]
	v_add_f64_e32 v[163:164], v[100:101], v[165:166]
	v_add_f64_e32 v[153:154], v[100:101], v[153:154]
	v_add_f64_e32 v[165:166], v[100:101], v[167:168]
	v_add_f64_e32 v[124:125], v[102:103], v[131:132]
	v_add_f64_e32 v[131:132], v[100:101], v[155:156]
	v_add_f64_e32 v[167:168], v[100:101], v[169:170]
	v_add_f64_e32 v[169:170], v[100:101], v[133:134]
	v_fma_f64 v[100:101], v[173:174], s[22:23], v[110:111]
	v_add_f64_e32 v[155:156], v[102:103], v[118:119]
	v_fma_f64 v[110:111], v[173:174], s[22:23], -v[110:111]
	v_add_f64_e32 v[50:51], v[157:158], v[50:51]
	s_delay_alu instid0(VALU_DEP_4) | instskip(SKIP_1) | instid1(VALU_DEP_4)
	v_add_f64_e32 v[96:97], v[100:101], v[96:97]
	v_fma_f64 v[100:101], v[175:176], s[22:23], -v[112:113]
	v_add_f64_e32 v[110:111], v[110:111], v[120:121]
	v_fma_f64 v[112:113], v[175:176], s[22:23], v[112:113]
	v_mul_f64_e32 v[120:121], s[24:25], v[86:87]
	v_add_f64_e32 v[50:51], v[50:51], v[58:59]
	v_add_f64_e32 v[98:99], v[100:101], v[98:99]
	v_mul_f64_e32 v[100:101], s[16:17], v[84:85]
	v_add_f64_e32 v[112:113], v[112:113], v[135:136]
	s_delay_alu instid0(VALU_DEP_4) | instskip(NEXT) | instid1(VALU_DEP_3)
	v_add_f64_e32 v[50:51], v[50:51], v[64:65]
	v_fma_f64 v[102:103], v[177:178], s[8:9], v[100:101]
	v_fma_f64 v[100:101], v[177:178], s[8:9], -v[100:101]
	s_delay_alu instid0(VALU_DEP_3) | instskip(NEXT) | instid1(VALU_DEP_3)
	v_add_f64_e32 v[50:51], v[50:51], v[60:61]
	v_add_f64_e32 v[96:97], v[102:103], v[96:97]
	v_mul_f64_e32 v[102:103], s[16:17], v[82:83]
	s_delay_alu instid0(VALU_DEP_4) | instskip(NEXT) | instid1(VALU_DEP_4)
	v_add_f64_e32 v[100:101], v[100:101], v[110:111]
	v_add_f64_e32 v[50:51], v[50:51], v[70:71]
	s_delay_alu instid0(VALU_DEP_3) | instskip(SKIP_1) | instid1(VALU_DEP_3)
	v_fma_f64 v[118:119], v[179:180], s[8:9], -v[102:103]
	v_fma_f64 v[102:103], v[179:180], s[8:9], v[102:103]
	v_add_f64_e32 v[50:51], v[50:51], v[72:73]
	s_delay_alu instid0(VALU_DEP_3) | instskip(SKIP_1) | instid1(VALU_DEP_4)
	v_add_f64_e32 v[98:99], v[118:119], v[98:99]
	v_mul_f64_e32 v[118:119], s[26:27], v[80:81]
	v_add_f64_e32 v[102:103], v[102:103], v[112:113]
	v_fma_f64 v[112:113], v[199:200], s[10:11], v[201:202]
	s_delay_alu instid0(VALU_DEP_3)
	v_fma_f64 v[133:134], v[181:182], s[12:13], v[118:119]
	v_fma_f64 v[110:111], v[181:182], s[12:13], -v[118:119]
	v_mul_f64_e32 v[118:119], s[24:25], v[88:89]
	s_mov_b32 s25, 0x3fedeba7
	s_mov_b32 s24, s20
	s_wait_alu 0xfffe
	v_mul_f64_e32 v[217:218], s[24:25], v[82:83]
	s_delay_alu instid0(VALU_DEP_4) | instskip(SKIP_2) | instid1(VALU_DEP_2)
	v_add_f64_e32 v[96:97], v[133:134], v[96:97]
	v_mul_f64_e32 v[133:134], s[26:27], v[78:79]
	v_add_f64_e32 v[100:101], v[110:111], v[100:101]
	v_fma_f64 v[185:186], v[183:184], s[12:13], -v[133:134]
	v_fma_f64 v[110:111], v[183:184], s[12:13], v[133:134]
	v_mul_f64_e32 v[133:134], s[30:31], v[84:85]
	s_delay_alu instid0(VALU_DEP_3) | instskip(SKIP_1) | instid1(VALU_DEP_4)
	v_add_f64_e32 v[98:99], v[185:186], v[98:99]
	v_add_f64_e32 v[185:186], v[60:61], v[30:31]
	;; [unrolled: 1-line block ×3, first 2 shown]
	s_delay_alu instid0(VALU_DEP_4) | instskip(SKIP_1) | instid1(VALU_DEP_4)
	v_fma_f64 v[135:136], v[177:178], s[12:13], v[133:134]
	v_add_f64_e32 v[30:31], v[50:51], v[30:31]
	v_fma_f64 v[189:190], v[185:186], s[0:1], v[187:188]
	v_fma_f64 v[110:111], v[185:186], s[0:1], -v[187:188]
	s_delay_alu instid0(VALU_DEP_3) | instskip(NEXT) | instid1(VALU_DEP_3)
	v_add_f64_e32 v[30:31], v[30:31], v[54:55]
	v_add_f64_e32 v[96:97], v[189:190], v[96:97]
	;; [unrolled: 1-line block ×3, first 2 shown]
	s_delay_alu instid0(VALU_DEP_4) | instskip(SKIP_2) | instid1(VALU_DEP_4)
	v_add_f64_e32 v[100:101], v[110:111], v[100:101]
	v_add_f64_e32 v[28:29], v[48:49], v[28:29]
	;; [unrolled: 1-line block ×3, first 2 shown]
	v_fma_f64 v[110:111], v[189:190], s[0:1], v[191:192]
	v_fma_f64 v[193:194], v[189:190], s[0:1], -v[191:192]
	v_mul_f64_e32 v[191:192], s[20:21], v[42:43]
	v_add_f64_e32 v[28:29], v[28:29], v[52:53]
	v_add_f64_e32 v[30:31], v[30:31], v[40:41]
	;; [unrolled: 1-line block ×3, first 2 shown]
	v_fma_f64 v[102:103], v[195:196], s[10:11], -v[197:198]
	v_add_f64_e32 v[193:194], v[193:194], v[98:99]
	v_fma_f64 v[98:99], v[195:196], s[10:11], v[197:198]
	v_mul_f64_e32 v[197:198], s[20:21], v[86:87]
	v_add_f64_e32 v[28:29], v[28:29], v[44:45]
	v_add_f64_e32 v[30:31], v[30:31], v[32:33]
	;; [unrolled: 1-line block ×4, first 2 shown]
	v_fma_f64 v[110:111], v[173:174], s[10:11], v[118:119]
	v_fma_f64 v[112:113], v[175:176], s[10:11], -v[120:121]
	v_fma_f64 v[118:119], v[173:174], s[10:11], -v[118:119]
	v_fma_f64 v[120:121], v[175:176], s[10:11], v[120:121]
	v_add_f64_e32 v[98:99], v[98:99], v[96:97]
	v_fma_f64 v[96:97], v[199:200], s[10:11], -v[201:202]
	v_mul_f64_e32 v[201:202], s[18:19], v[84:85]
	v_add_f64_e32 v[28:29], v[28:29], v[36:37]
	v_add_f64_e32 v[110:111], v[110:111], v[137:138]
	;; [unrolled: 1-line block ×4, first 2 shown]
	v_fma_f64 v[122:123], v[177:178], s[12:13], -v[133:134]
	v_add_f64_e32 v[120:121], v[120:121], v[149:150]
	v_add_f64_e32 v[96:97], v[96:97], v[193:194]
	v_mul_f64_e32 v[193:194], s[20:21], v[76:77]
	v_mul_f64_e32 v[149:150], s[34:35], v[66:67]
	;; [unrolled: 1-line block ×3, first 2 shown]
	v_add_f64_e32 v[28:29], v[28:29], v[38:39]
	v_add_f64_e32 v[110:111], v[135:136], v[110:111]
	v_mul_f64_e32 v[135:136], s[30:31], v[82:83]
	v_mul_f64_e32 v[82:83], s[28:29], v[82:83]
	v_add_f64_e32 v[118:119], v[122:123], v[118:119]
	s_delay_alu instid0(VALU_DEP_3) | instskip(SKIP_3) | instid1(VALU_DEP_4)
	v_fma_f64 v[137:138], v[179:180], s[12:13], -v[135:136]
	v_fma_f64 v[122:123], v[179:180], s[12:13], v[135:136]
	v_mul_f64_e32 v[135:136], s[36:37], v[88:89]
	v_fma_f64 v[40:41], v[179:180], s[10:11], -v[82:83]
	v_add_f64_e32 v[112:113], v[137:138], v[112:113]
	v_mul_f64_e32 v[137:138], s[34:35], v[80:81]
	v_add_f64_e32 v[120:121], v[122:123], v[120:121]
	s_delay_alu instid0(VALU_DEP_2) | instskip(SKIP_3) | instid1(VALU_DEP_4)
	v_fma_f64 v[147:148], v[181:182], s[14:15], v[137:138]
	v_fma_f64 v[122:123], v[181:182], s[14:15], -v[137:138]
	v_mul_f64_e32 v[137:138], s[36:37], v[86:87]
	v_mul_f64_e32 v[86:87], s[30:31], v[86:87]
	v_add_f64_e32 v[110:111], v[147:148], v[110:111]
	v_mul_f64_e32 v[147:148], s[34:35], v[78:79]
	v_add_f64_e32 v[118:119], v[122:123], v[118:119]
	s_delay_alu instid0(VALU_DEP_4) | instskip(NEXT) | instid1(VALU_DEP_3)
	v_fma_f64 v[36:37], v[175:176], s[12:13], -v[86:87]
	v_fma_f64 v[187:188], v[183:184], s[14:15], -v[147:148]
	v_fma_f64 v[122:123], v[183:184], s[14:15], v[147:148]
	v_mul_f64_e32 v[147:148], s[28:29], v[78:79]
	s_delay_alu instid0(VALU_DEP_4) | instskip(NEXT) | instid1(VALU_DEP_4)
	v_add_f64_e32 v[36:37], v[36:37], v[169:170]
	v_add_f64_e32 v[112:113], v[187:188], v[112:113]
	v_fma_f64 v[187:188], v[185:186], s[22:23], v[114:115]
	v_add_f64_e32 v[120:121], v[122:123], v[120:121]
	v_fma_f64 v[114:115], v[185:186], s[22:23], -v[114:115]
	v_fma_f64 v[122:123], v[177:178], s[22:23], v[106:107]
	v_fma_f64 v[106:107], v[177:178], s[22:23], -v[106:107]
	v_add_f64_e32 v[36:37], v[40:41], v[36:37]
	v_add_f64_e32 v[110:111], v[187:188], v[110:111]
	v_fma_f64 v[187:188], v[189:190], s[22:23], -v[116:117]
	v_fma_f64 v[116:117], v[189:190], s[22:23], v[116:117]
	v_add_f64_e32 v[114:115], v[114:115], v[118:119]
	s_delay_alu instid0(VALU_DEP_3) | instskip(NEXT) | instid1(VALU_DEP_3)
	v_add_f64_e32 v[187:188], v[187:188], v[112:113]
	v_add_f64_e32 v[118:119], v[116:117], v[120:121]
	v_fma_f64 v[116:117], v[195:196], s[0:1], -v[191:192]
	v_fma_f64 v[120:121], v[199:200], s[0:1], v[193:194]
	v_fma_f64 v[112:113], v[195:196], s[0:1], v[191:192]
	v_mul_f64_e32 v[191:192], s[26:27], v[76:77]
	s_delay_alu instid0(VALU_DEP_4) | instskip(NEXT) | instid1(VALU_DEP_4)
	v_add_f64_e32 v[116:117], v[116:117], v[114:115]
	v_add_f64_e32 v[114:115], v[120:121], v[118:119]
	v_fma_f64 v[118:119], v[173:174], s[8:9], v[135:136]
	v_fma_f64 v[120:121], v[175:176], s[8:9], -v[137:138]
	v_add_f64_e32 v[112:113], v[112:113], v[110:111]
	v_fma_f64 v[110:111], v[199:200], s[0:1], -v[193:194]
	v_mul_f64_e32 v[193:194], s[20:21], v[88:89]
	v_fma_f64 v[135:136], v[173:174], s[8:9], -v[135:136]
	v_fma_f64 v[137:138], v[175:176], s[8:9], v[137:138]
	v_mul_f64_e32 v[88:89], s[30:31], v[88:89]
	v_add_f64_e32 v[118:119], v[118:119], v[139:140]
	v_add_f64_e32 v[120:121], v[120:121], v[159:160]
	v_mul_f64_e32 v[139:140], s[28:29], v[80:81]
	v_mul_f64_e32 v[159:160], s[34:35], v[34:35]
	v_add_f64_e32 v[110:111], v[110:111], v[187:188]
	v_mul_f64_e32 v[187:188], s[26:27], v[42:43]
	v_add_f64_e32 v[135:136], v[135:136], v[161:162]
	v_add_f64_e32 v[137:138], v[137:138], v[151:152]
	v_mul_f64_e32 v[80:81], s[20:21], v[80:81]
	v_fma_f64 v[32:33], v[173:174], s[12:13], v[88:89]
	v_mul_f64_e32 v[34:35], s[16:17], v[34:35]
	v_mul_f64_e32 v[42:43], s[18:19], v[42:43]
	v_add_f64_e32 v[118:119], v[122:123], v[118:119]
	v_fma_f64 v[122:123], v[179:180], s[22:23], -v[108:109]
	v_fma_f64 v[108:109], v[179:180], s[22:23], v[108:109]
	v_add_f64_e32 v[106:107], v[106:107], v[135:136]
	v_fma_f64 v[135:136], v[181:182], s[10:11], -v[139:140]
	v_fma_f64 v[44:45], v[181:182], s[0:1], v[80:81]
	v_add_f64_e32 v[32:33], v[32:33], v[145:146]
	v_fma_f64 v[40:41], v[195:196], s[14:15], v[42:43]
	v_add_f64_e32 v[120:121], v[122:123], v[120:121]
	;; [unrolled: 2-line block ×5, first 2 shown]
	v_fma_f64 v[122:123], v[183:184], s[10:11], -v[147:148]
	s_delay_alu instid0(VALU_DEP_3) | instskip(SKIP_1) | instid1(VALU_DEP_3)
	v_add_f64_e32 v[108:109], v[135:136], v[108:109]
	v_fma_f64 v[135:136], v[185:186], s[14:15], -v[149:150]
	v_add_f64_e32 v[120:121], v[122:123], v[120:121]
	v_fma_f64 v[122:123], v[185:186], s[14:15], v[149:150]
	s_delay_alu instid0(VALU_DEP_3) | instskip(SKIP_1) | instid1(VALU_DEP_3)
	v_add_f64_e32 v[106:107], v[135:136], v[106:107]
	v_fma_f64 v[135:136], v[189:190], s[14:15], v[159:160]
	v_add_f64_e32 v[118:119], v[122:123], v[118:119]
	v_fma_f64 v[122:123], v[189:190], s[14:15], -v[159:160]
	s_delay_alu instid0(VALU_DEP_3) | instskip(SKIP_1) | instid1(VALU_DEP_3)
	v_add_f64_e32 v[135:136], v[135:136], v[108:109]
	v_fma_f64 v[108:109], v[195:196], s[12:13], -v[187:188]
	v_add_f64_e32 v[122:123], v[122:123], v[120:121]
	v_fma_f64 v[120:121], v[195:196], s[12:13], v[187:188]
	s_delay_alu instid0(VALU_DEP_3)
	v_add_f64_e32 v[108:109], v[108:109], v[106:107]
	v_add_f64_e32 v[106:107], v[137:138], v[135:136]
	v_fma_f64 v[135:136], v[173:174], s[14:15], v[213:214]
	v_fma_f64 v[137:138], v[175:176], s[14:15], -v[215:216]
	v_add_f64_e32 v[120:121], v[120:121], v[118:119]
	v_fma_f64 v[118:119], v[199:200], s[12:13], -v[191:192]
	s_delay_alu instid0(VALU_DEP_4) | instskip(NEXT) | instid1(VALU_DEP_4)
	v_add_f64_e32 v[135:136], v[135:136], v[141:142]
	v_add_f64_e32 v[137:138], v[137:138], v[163:164]
	s_delay_alu instid0(VALU_DEP_3) | instskip(SKIP_1) | instid1(VALU_DEP_1)
	v_add_f64_e32 v[118:119], v[118:119], v[122:123]
	v_fma_f64 v[122:123], v[173:174], s[0:1], -v[193:194]
	v_add_f64_e32 v[122:123], v[122:123], v[124:125]
	v_fma_f64 v[124:125], v[175:176], s[0:1], v[197:198]
	s_delay_alu instid0(VALU_DEP_1) | instskip(SKIP_1) | instid1(VALU_DEP_1)
	v_add_f64_e32 v[124:125], v[124:125], v[131:132]
	v_fma_f64 v[131:132], v[177:178], s[14:15], -v[201:202]
	v_add_f64_e32 v[122:123], v[131:132], v[122:123]
	v_fma_f64 v[131:132], v[179:180], s[14:15], v[203:204]
	s_delay_alu instid0(VALU_DEP_1) | instskip(SKIP_1) | instid1(VALU_DEP_1)
	;; [unrolled: 5-line block ×3, first 2 shown]
	v_add_f64_e32 v[124:125], v[131:132], v[124:125]
	v_fma_f64 v[131:132], v[185:186], s[10:11], -v[209:210]
	v_add_f64_e32 v[122:123], v[131:132], v[122:123]
	v_fma_f64 v[131:132], v[189:190], s[10:11], v[211:212]
	s_delay_alu instid0(VALU_DEP_1) | instskip(SKIP_2) | instid1(VALU_DEP_2)
	v_add_f64_e32 v[131:132], v[131:132], v[124:125]
	v_fma_f64 v[124:125], v[195:196], s[22:23], -v[90:91]
	v_fma_f64 v[90:91], v[195:196], s[22:23], v[90:91]
	v_add_f64_e32 v[124:125], v[124:125], v[122:123]
	v_fma_f64 v[122:123], v[199:200], s[22:23], v[92:93]
	s_delay_alu instid0(VALU_DEP_1) | instskip(SKIP_1) | instid1(VALU_DEP_1)
	v_add_f64_e32 v[122:123], v[122:123], v[131:132]
	v_fma_f64 v[131:132], v[173:174], s[14:15], -v[213:214]
	v_add_f64_e32 v[126:127], v[131:132], v[126:127]
	v_fma_f64 v[131:132], v[175:176], s[14:15], v[215:216]
	s_delay_alu instid0(VALU_DEP_1) | instskip(SKIP_2) | instid1(VALU_DEP_2)
	v_add_f64_e32 v[131:132], v[131:132], v[153:154]
	v_mul_f64_e32 v[153:154], s[24:25], v[84:85]
	v_mul_f64_e32 v[84:85], s[28:29], v[84:85]
	v_fma_f64 v[133:134], v[177:178], s[0:1], -v[153:154]
	v_fma_f64 v[139:140], v[177:178], s[0:1], v[153:154]
	s_delay_alu instid0(VALU_DEP_3) | instskip(NEXT) | instid1(VALU_DEP_3)
	v_fma_f64 v[38:39], v[177:178], s[10:11], v[84:85]
	v_add_f64_e32 v[126:127], v[133:134], v[126:127]
	v_fma_f64 v[133:134], v[179:180], s[0:1], v[217:218]
	s_delay_alu instid0(VALU_DEP_4)
	v_add_f64_e32 v[135:136], v[139:140], v[135:136]
	v_fma_f64 v[139:140], v[179:180], s[0:1], -v[217:218]
	v_add_f64_e32 v[32:33], v[38:39], v[32:33]
	v_fma_f64 v[38:39], v[185:186], s[8:9], v[66:67]
	v_add_f64_e32 v[131:132], v[133:134], v[131:132]
	v_fma_f64 v[133:134], v[181:182], s[22:23], -v[94:95]
	v_fma_f64 v[94:95], v[181:182], s[22:23], v[94:95]
	v_add_f64_e32 v[137:138], v[139:140], v[137:138]
	v_mul_f64_e32 v[139:140], s[18:19], v[76:77]
	v_add_f64_e32 v[32:33], v[44:45], v[32:33]
	v_add_f64_e32 v[126:127], v[133:134], v[126:127]
	v_fma_f64 v[133:134], v[183:184], s[22:23], v[104:105]
	v_add_f64_e32 v[94:95], v[94:95], v[135:136]
	v_fma_f64 v[104:105], v[183:184], s[22:23], -v[104:105]
	v_fma_f64 v[135:136], v[185:186], s[12:13], v[219:220]
	v_add_f64_e32 v[32:33], v[38:39], v[32:33]
	v_add_f64_e32 v[131:132], v[133:134], v[131:132]
	v_fma_f64 v[133:134], v[185:186], s[12:13], -v[219:220]
	v_add_f64_e32 v[104:105], v[104:105], v[137:138]
	v_add_f64_e32 v[94:95], v[135:136], v[94:95]
	v_fma_f64 v[135:136], v[189:190], s[12:13], -v[221:222]
	s_delay_alu instid0(VALU_DEP_4) | instskip(SKIP_1) | instid1(VALU_DEP_3)
	v_add_f64_e32 v[126:127], v[133:134], v[126:127]
	v_fma_f64 v[133:134], v[189:190], s[12:13], v[221:222]
	v_add_f64_e32 v[104:105], v[135:136], v[104:105]
	v_fma_f64 v[135:136], v[195:196], s[8:9], v[223:224]
	s_delay_alu instid0(VALU_DEP_3) | instskip(SKIP_1) | instid1(VALU_DEP_3)
	v_add_f64_e32 v[131:132], v[133:134], v[131:132]
	v_fma_f64 v[133:134], v[195:196], s[8:9], -v[223:224]
	v_add_f64_e32 v[137:138], v[135:136], v[94:95]
	v_fma_f64 v[94:95], v[173:174], s[0:1], v[193:194]
	s_delay_alu instid0(VALU_DEP_3) | instskip(SKIP_2) | instid1(VALU_DEP_4)
	v_add_f64_e32 v[133:134], v[133:134], v[126:127]
	v_mul_f64_e32 v[126:127], s[16:17], v[76:77]
	v_fma_f64 v[76:77], v[195:196], s[14:15], -v[42:43]
	v_add_f64_e32 v[94:95], v[94:95], v[143:144]
	v_fma_f64 v[42:43], v[199:200], s[14:15], -v[139:140]
	s_delay_alu instid0(VALU_DEP_4) | instskip(SKIP_1) | instid1(VALU_DEP_2)
	v_fma_f64 v[225:226], v[199:200], s[8:9], v[126:127]
	v_fma_f64 v[126:127], v[199:200], s[8:9], -v[126:127]
	v_add_f64_e32 v[131:132], v[225:226], v[131:132]
	s_delay_alu instid0(VALU_DEP_2)
	v_add_f64_e32 v[135:136], v[126:127], v[104:105]
	v_fma_f64 v[104:105], v[175:176], s[0:1], -v[197:198]
	v_fma_f64 v[126:127], v[177:178], s[14:15], v[201:202]
	scratch_load_b32 v201, off, off         ; 4-byte Folded Reload
	v_add_f64_e32 v[104:105], v[104:105], v[165:166]
	v_add_f64_e32 v[94:95], v[126:127], v[94:95]
	v_fma_f64 v[126:127], v[179:180], s[14:15], -v[203:204]
	s_delay_alu instid0(VALU_DEP_1) | instskip(SKIP_1) | instid1(VALU_DEP_1)
	v_add_f64_e32 v[104:105], v[126:127], v[104:105]
	v_fma_f64 v[126:127], v[181:182], s[8:9], v[205:206]
	v_add_f64_e32 v[94:95], v[126:127], v[94:95]
	v_fma_f64 v[126:127], v[183:184], s[8:9], -v[207:208]
	s_delay_alu instid0(VALU_DEP_1) | instskip(SKIP_1) | instid1(VALU_DEP_1)
	v_add_f64_e32 v[104:105], v[126:127], v[104:105]
	v_fma_f64 v[126:127], v[185:186], s[10:11], v[209:210]
	v_add_f64_e32 v[94:95], v[126:127], v[94:95]
	v_fma_f64 v[126:127], v[189:190], s[10:11], -v[211:212]
	s_delay_alu instid0(VALU_DEP_1) | instskip(SKIP_1) | instid1(VALU_DEP_4)
	v_add_f64_e32 v[104:105], v[126:127], v[104:105]
	v_fma_f64 v[126:127], v[199:200], s[22:23], -v[92:93]
	v_add_f64_e32 v[92:93], v[90:91], v[94:95]
	v_fma_f64 v[94:95], v[173:174], s[12:13], -v[88:89]
	s_delay_alu instid0(VALU_DEP_3) | instskip(SKIP_1) | instid1(VALU_DEP_3)
	v_add_f64_e32 v[90:91], v[126:127], v[104:105]
	v_fma_f64 v[104:105], v[175:176], s[12:13], v[86:87]
	v_add_f64_e32 v[94:95], v[94:95], v[155:156]
	v_fma_f64 v[126:127], v[177:178], s[10:11], -v[84:85]
	s_delay_alu instid0(VALU_DEP_3) | instskip(NEXT) | instid1(VALU_DEP_2)
	v_add_f64_e32 v[104:105], v[104:105], v[167:168]
	v_add_f64_e32 v[94:95], v[126:127], v[94:95]
	v_fma_f64 v[126:127], v[179:180], s[10:11], v[82:83]
	s_delay_alu instid0(VALU_DEP_1) | instskip(SKIP_1) | instid1(VALU_DEP_1)
	v_add_f64_e32 v[104:105], v[126:127], v[104:105]
	v_fma_f64 v[126:127], v[181:182], s[0:1], -v[80:81]
	v_add_f64_e32 v[94:95], v[126:127], v[94:95]
	v_mul_f64_e32 v[126:127], s[20:21], v[78:79]
	s_delay_alu instid0(VALU_DEP_1) | instskip(SKIP_1) | instid1(VALU_DEP_2)
	v_fma_f64 v[78:79], v[183:184], s[0:1], v[126:127]
	v_fma_f64 v[46:47], v[183:184], s[0:1], -v[126:127]
	v_add_f64_e32 v[78:79], v[78:79], v[104:105]
	v_fma_f64 v[104:105], v[185:186], s[8:9], -v[66:67]
	s_delay_alu instid0(VALU_DEP_3) | instskip(NEXT) | instid1(VALU_DEP_2)
	v_add_f64_e32 v[36:37], v[46:47], v[36:37]
	v_add_f64_e32 v[94:95], v[104:105], v[94:95]
	v_fma_f64 v[104:105], v[189:190], s[8:9], v[34:35]
	v_fma_f64 v[34:35], v[189:190], s[8:9], -v[34:35]
	s_delay_alu instid0(VALU_DEP_2) | instskip(NEXT) | instid1(VALU_DEP_2)
	v_add_f64_e32 v[104:105], v[104:105], v[78:79]
	v_add_f64_e32 v[36:37], v[34:35], v[36:37]
	;; [unrolled: 1-line block ×4, first 2 shown]
	v_fma_f64 v[76:77], v[199:200], s[14:15], v[139:140]
	s_delay_alu instid0(VALU_DEP_4)
	v_add_f64_e32 v[32:33], v[42:43], v[36:37]
	scratch_load_b32 v36, off, off offset:4 th:TH_LOAD_LU ; 4-byte Folded Reload
	v_add_f64_e32 v[76:77], v[76:77], v[104:105]
	s_wait_loadcnt 0x0
	v_lshl_add_u32 v36, v201, 4, v36
	ds_store_b128 v36, v[122:125] offset:224
	ds_store_b128 v36, v[131:134] offset:336
	;; [unrolled: 1-line block ×11, first 2 shown]
	ds_store_b128 v255, v[28:31]
	ds_store_b128 v36, v[32:35] offset:1344
.LBB0_9:
	s_or_b32 exec_lo, exec_lo, s33
	global_wb scope:SCOPE_SE
	s_wait_dscnt 0x0
	s_barrier_signal -1
	s_barrier_wait -1
	global_inv scope:SCOPE_SE
	ds_load_b128 v[28:31], v255
	ds_load_b128 v[32:35], v255 offset:208
	ds_load_b128 v[36:39], v255 offset:416
	;; [unrolled: 1-line block ×6, first 2 shown]
	v_mad_co_u64_u32 v[70:71], null, s6, v128, 0
	v_mad_co_u64_u32 v[72:73], null, s4, v201, 0
	s_mov_b32 s0, 0x16816817
	s_mov_b32 s1, 0x3f868168
	s_wait_dscnt 0x6
	v_mul_f64_e32 v[56:57], v[2:3], v[30:31]
	v_mul_f64_e32 v[2:3], v[2:3], v[28:29]
	s_wait_dscnt 0x5
	v_mul_f64_e32 v[58:59], v[6:7], v[34:35]
	v_mul_f64_e32 v[6:7], v[6:7], v[32:33]
	;; [unrolled: 3-line block ×7, first 2 shown]
	v_fma_f64 v[28:29], v[0:1], v[28:29], v[56:57]
	v_fma_f64 v[2:3], v[0:1], v[30:31], -v[2:3]
	v_fma_f64 v[30:31], v[4:5], v[32:33], v[58:59]
	v_fma_f64 v[6:7], v[4:5], v[34:35], -v[6:7]
	;; [unrolled: 2-line block ×7, first 2 shown]
	v_mad_co_u64_u32 v[4:5], null, s7, v128, v[71:72]
	s_delay_alu instid0(VALU_DEP_1) | instskip(NEXT) | instid1(VALU_DEP_1)
	v_dual_mov_b32 v0, v73 :: v_dual_mov_b32 v71, v4
	v_mad_co_u64_u32 v[0:1], null, s5, v201, v[0:1]
	s_delay_alu instid0(VALU_DEP_1) | instskip(NEXT) | instid1(VALU_DEP_3)
	v_mov_b32_e32 v73, v0
	v_lshlrev_b64_e32 v[0:1], 4, v[70:71]
	s_delay_alu instid0(VALU_DEP_2) | instskip(NEXT) | instid1(VALU_DEP_2)
	v_lshlrev_b64_e32 v[42:43], 4, v[72:73]
	v_add_co_u32 v44, vcc_lo, s2, v0
	s_wait_alu 0xfffd
	s_delay_alu instid0(VALU_DEP_3)
	v_add_co_ci_u32_e32 v45, vcc_lo, s3, v1, vcc_lo
	s_wait_alu 0xfffe
	v_mul_f64_e32 v[0:1], s[0:1], v[28:29]
	v_mul_f64_e32 v[2:3], s[0:1], v[2:3]
	;; [unrolled: 1-line block ×14, first 2 shown]
	v_add_co_u32 v28, vcc_lo, v44, v42
	s_wait_alu 0xfffd
	v_add_co_ci_u32_e32 v29, vcc_lo, v45, v43, vcc_lo
	s_mul_u64 s[0:1], s[4:5], 0xd0
	s_wait_alu 0xfffe
	v_add_co_u32 v30, vcc_lo, v28, s0
	s_wait_alu 0xfffd
	v_add_co_ci_u32_e32 v31, vcc_lo, s1, v29, vcc_lo
	s_delay_alu instid0(VALU_DEP_2) | instskip(SKIP_1) | instid1(VALU_DEP_2)
	v_add_co_u32 v32, vcc_lo, v30, s0
	s_wait_alu 0xfffd
	v_add_co_ci_u32_e32 v33, vcc_lo, s1, v31, vcc_lo
	s_delay_alu instid0(VALU_DEP_2) | instskip(SKIP_1) | instid1(VALU_DEP_2)
	v_add_co_u32 v34, vcc_lo, v32, s0
	s_wait_alu 0xfffd
	v_add_co_ci_u32_e32 v35, vcc_lo, s1, v33, vcc_lo
	s_delay_alu instid0(VALU_DEP_2) | instskip(SKIP_1) | instid1(VALU_DEP_2)
	v_add_co_u32 v36, vcc_lo, v34, s0
	s_wait_alu 0xfffd
	v_add_co_ci_u32_e32 v37, vcc_lo, s1, v35, vcc_lo
	s_delay_alu instid0(VALU_DEP_2) | instskip(SKIP_1) | instid1(VALU_DEP_2)
	v_add_co_u32 v38, vcc_lo, v36, s0
	s_wait_alu 0xfffd
	v_add_co_ci_u32_e32 v39, vcc_lo, s1, v37, vcc_lo
	s_delay_alu instid0(VALU_DEP_2) | instskip(SKIP_1) | instid1(VALU_DEP_2)
	v_add_co_u32 v40, vcc_lo, v38, s0
	s_wait_alu 0xfffd
	v_add_co_ci_u32_e32 v41, vcc_lo, s1, v39, vcc_lo
	s_clause 0x4
	global_store_b128 v[28:29], v[0:3], off
	global_store_b128 v[30:31], v[4:7], off
	global_store_b128 v[32:33], v[8:11], off
	global_store_b128 v[34:35], v[12:15], off
	global_store_b128 v[36:37], v[16:19], off
	global_store_b128 v[38:39], v[20:23], off
	global_store_b128 v[40:41], v[24:27], off
.LBB0_10:
	s_nop 0
	s_sendmsg sendmsg(MSG_DEALLOC_VGPRS)
	s_endpgm
	.section	.rodata,"a",@progbits
	.p2align	6, 0x0
	.amdhsa_kernel bluestein_single_fwd_len91_dim1_dp_op_CI_CI
		.amdhsa_group_segment_fixed_size 27664
		.amdhsa_private_segment_fixed_size 332
		.amdhsa_kernarg_size 104
		.amdhsa_user_sgpr_count 2
		.amdhsa_user_sgpr_dispatch_ptr 0
		.amdhsa_user_sgpr_queue_ptr 0
		.amdhsa_user_sgpr_kernarg_segment_ptr 1
		.amdhsa_user_sgpr_dispatch_id 0
		.amdhsa_user_sgpr_private_segment_size 0
		.amdhsa_wavefront_size32 1
		.amdhsa_uses_dynamic_stack 0
		.amdhsa_enable_private_segment 1
		.amdhsa_system_sgpr_workgroup_id_x 1
		.amdhsa_system_sgpr_workgroup_id_y 0
		.amdhsa_system_sgpr_workgroup_id_z 0
		.amdhsa_system_sgpr_workgroup_info 0
		.amdhsa_system_vgpr_workitem_id 0
		.amdhsa_next_free_vgpr 256
		.amdhsa_next_free_sgpr 40
		.amdhsa_reserve_vcc 1
		.amdhsa_float_round_mode_32 0
		.amdhsa_float_round_mode_16_64 0
		.amdhsa_float_denorm_mode_32 3
		.amdhsa_float_denorm_mode_16_64 3
		.amdhsa_fp16_overflow 0
		.amdhsa_workgroup_processor_mode 1
		.amdhsa_memory_ordered 1
		.amdhsa_forward_progress 0
		.amdhsa_round_robin_scheduling 0
		.amdhsa_exception_fp_ieee_invalid_op 0
		.amdhsa_exception_fp_denorm_src 0
		.amdhsa_exception_fp_ieee_div_zero 0
		.amdhsa_exception_fp_ieee_overflow 0
		.amdhsa_exception_fp_ieee_underflow 0
		.amdhsa_exception_fp_ieee_inexact 0
		.amdhsa_exception_int_div_zero 0
	.end_amdhsa_kernel
	.text
.Lfunc_end0:
	.size	bluestein_single_fwd_len91_dim1_dp_op_CI_CI, .Lfunc_end0-bluestein_single_fwd_len91_dim1_dp_op_CI_CI
                                        ; -- End function
	.section	.AMDGPU.csdata,"",@progbits
; Kernel info:
; codeLenInByte = 12228
; NumSgprs: 42
; NumVgprs: 256
; ScratchSize: 332
; MemoryBound: 0
; FloatMode: 240
; IeeeMode: 1
; LDSByteSize: 27664 bytes/workgroup (compile time only)
; SGPRBlocks: 5
; VGPRBlocks: 31
; NumSGPRsForWavesPerEU: 42
; NumVGPRsForWavesPerEU: 256
; Occupancy: 5
; WaveLimiterHint : 1
; COMPUTE_PGM_RSRC2:SCRATCH_EN: 1
; COMPUTE_PGM_RSRC2:USER_SGPR: 2
; COMPUTE_PGM_RSRC2:TRAP_HANDLER: 0
; COMPUTE_PGM_RSRC2:TGID_X_EN: 1
; COMPUTE_PGM_RSRC2:TGID_Y_EN: 0
; COMPUTE_PGM_RSRC2:TGID_Z_EN: 0
; COMPUTE_PGM_RSRC2:TIDIG_COMP_CNT: 0
	.text
	.p2alignl 7, 3214868480
	.fill 96, 4, 3214868480
	.type	__hip_cuid_7daefe421bf64fff,@object ; @__hip_cuid_7daefe421bf64fff
	.section	.bss,"aw",@nobits
	.globl	__hip_cuid_7daefe421bf64fff
__hip_cuid_7daefe421bf64fff:
	.byte	0                               ; 0x0
	.size	__hip_cuid_7daefe421bf64fff, 1

	.ident	"AMD clang version 19.0.0git (https://github.com/RadeonOpenCompute/llvm-project roc-6.4.0 25133 c7fe45cf4b819c5991fe208aaa96edf142730f1d)"
	.section	".note.GNU-stack","",@progbits
	.addrsig
	.addrsig_sym __hip_cuid_7daefe421bf64fff
	.amdgpu_metadata
---
amdhsa.kernels:
  - .args:
      - .actual_access:  read_only
        .address_space:  global
        .offset:         0
        .size:           8
        .value_kind:     global_buffer
      - .actual_access:  read_only
        .address_space:  global
        .offset:         8
        .size:           8
        .value_kind:     global_buffer
      - .actual_access:  read_only
        .address_space:  global
        .offset:         16
        .size:           8
        .value_kind:     global_buffer
      - .actual_access:  read_only
        .address_space:  global
        .offset:         24
        .size:           8
        .value_kind:     global_buffer
      - .actual_access:  read_only
        .address_space:  global
        .offset:         32
        .size:           8
        .value_kind:     global_buffer
      - .offset:         40
        .size:           8
        .value_kind:     by_value
      - .address_space:  global
        .offset:         48
        .size:           8
        .value_kind:     global_buffer
      - .address_space:  global
        .offset:         56
        .size:           8
        .value_kind:     global_buffer
      - .address_space:  global
        .offset:         64
        .size:           8
        .value_kind:     global_buffer
      - .address_space:  global
        .offset:         72
        .size:           8
        .value_kind:     global_buffer
      - .offset:         80
        .size:           4
        .value_kind:     by_value
      - .address_space:  global
        .offset:         88
        .size:           8
        .value_kind:     global_buffer
      - .address_space:  global
        .offset:         96
        .size:           8
        .value_kind:     global_buffer
    .group_segment_fixed_size: 27664
    .kernarg_segment_align: 8
    .kernarg_segment_size: 104
    .language:       OpenCL C
    .language_version:
      - 2
      - 0
    .max_flat_workgroup_size: 247
    .name:           bluestein_single_fwd_len91_dim1_dp_op_CI_CI
    .private_segment_fixed_size: 332
    .sgpr_count:     42
    .sgpr_spill_count: 0
    .symbol:         bluestein_single_fwd_len91_dim1_dp_op_CI_CI.kd
    .uniform_work_group_size: 1
    .uses_dynamic_stack: false
    .vgpr_count:     256
    .vgpr_spill_count: 82
    .wavefront_size: 32
    .workgroup_processor_mode: 1
amdhsa.target:   amdgcn-amd-amdhsa--gfx1201
amdhsa.version:
  - 1
  - 2
...

	.end_amdgpu_metadata
